;; amdgpu-corpus repo=ROCm/rocFFT kind=compiled arch=gfx906 opt=O3
	.text
	.amdgcn_target "amdgcn-amd-amdhsa--gfx906"
	.amdhsa_code_object_version 6
	.protected	bluestein_single_back_len780_dim1_half_op_CI_CI ; -- Begin function bluestein_single_back_len780_dim1_half_op_CI_CI
	.globl	bluestein_single_back_len780_dim1_half_op_CI_CI
	.p2align	8
	.type	bluestein_single_back_len780_dim1_half_op_CI_CI,@function
bluestein_single_back_len780_dim1_half_op_CI_CI: ; @bluestein_single_back_len780_dim1_half_op_CI_CI
; %bb.0:
	v_mul_u32_u24_e32 v1, 0x349, v0
	s_load_dwordx4 s[8:11], s[4:5], 0x28
	v_lshrrev_b32_e32 v1, 16, v1
	v_mad_u64_u32 v[16:17], s[0:1], s6, 3, v[1:2]
	v_mov_b32_e32 v17, 0
	s_waitcnt lgkmcnt(0)
	v_cmp_gt_u64_e32 vcc, s[8:9], v[16:17]
	s_and_saveexec_b64 s[0:1], vcc
	s_cbranch_execz .LBB0_18
; %bb.1:
	s_load_dwordx4 s[0:3], s[4:5], 0x18
	s_load_dwordx4 s[12:15], s[4:5], 0x0
	v_mul_lo_u16_e32 v1, 0x4e, v1
	v_sub_u16_e32 v40, v0, v1
	v_lshlrev_b32_e32 v29, 2, v40
	s_waitcnt lgkmcnt(0)
	s_load_dwordx4 s[16:19], s[0:1], 0x0
	global_load_dword v41, v29, s[12:13]
	s_load_dwordx2 s[4:5], s[4:5], 0x38
	s_waitcnt lgkmcnt(0)
	v_mad_u64_u32 v[0:1], s[0:1], s18, v16, 0
	v_mad_u64_u32 v[2:3], s[0:1], s16, v40, 0
	s_mul_hi_u32 s7, s16, 0xfffffb20
	s_mul_i32 s6, s17, 0xfffffb20
	v_mad_u64_u32 v[4:5], s[0:1], s19, v16, v[1:2]
	s_sub_i32 s7, s7, s16
	s_add_i32 s6, s7, s6
	v_mad_u64_u32 v[5:6], s[0:1], s17, v40, v[3:4]
	v_mov_b32_e32 v1, v4
	v_lshlrev_b64 v[0:1], 2, v[0:1]
	v_mov_b32_e32 v6, s11
	v_mov_b32_e32 v3, v5
	v_add_co_u32_e32 v4, vcc, s10, v0
	v_addc_co_u32_e32 v5, vcc, v6, v1, vcc
	v_lshlrev_b64 v[0:1], 2, v[2:3]
	s_mul_i32 s0, s17, 0x618
	v_add_co_u32_e32 v0, vcc, v4, v0
	s_mul_hi_u32 s1, s16, 0x618
	v_addc_co_u32_e32 v1, vcc, v5, v1, vcc
	s_add_i32 s0, s1, s0
	s_mul_i32 s1, s16, 0x618
	v_mov_b32_e32 v3, s0
	v_add_co_u32_e32 v2, vcc, s1, v0
	v_addc_co_u32_e32 v3, vcc, v1, v3, vcc
	global_load_dword v4, v[0:1], off
	global_load_dword v5, v[2:3], off
	global_load_dword v39, v29, s[12:13] offset:1560
	s_mul_i32 s7, s16, 0xfffffb20
	v_mov_b32_e32 v1, s6
	v_add_co_u32_e32 v0, vcc, s7, v2
	v_addc_co_u32_e32 v1, vcc, v3, v1, vcc
	global_load_dword v2, v[0:1], off
	global_load_dword v38, v29, s[12:13] offset:312
	v_mov_b32_e32 v3, s0
	v_add_co_u32_e32 v0, vcc, s1, v0
	v_addc_co_u32_e32 v1, vcc, v1, v3, vcc
	global_load_dword v3, v[0:1], off
	global_load_dword v36, v29, s[12:13] offset:1872
	;; [unrolled: 5-line block ×8, first 2 shown]
	s_mov_b32 s0, 0xaaaaaaab
	v_mul_hi_u32 v0, v16, s0
	s_load_dwordx4 s[8:11], s[2:3], 0x0
	s_movk_i32 s0, 0x4e
	v_add_co_u32_e32 v19, vcc, s0, v40
	v_lshrrev_b32_e32 v0, 1, v0
	v_lshl_add_u32 v0, v0, 1, v0
	v_sub_u32_e32 v0, v16, v0
	v_mul_u32_u24_e32 v50, 0x30c, v0
	v_lshlrev_b32_e32 v42, 2, v50
	v_add_u32_e32 v37, v29, v42
	v_add_u32_e32 v14, 0x800, v37
	;; [unrolled: 1-line block ×3, first 2 shown]
	s_movk_i32 s0, 0x9c
	v_lshl_add_u32 v47, v19, 3, v42
	v_lshl_add_u32 v56, v40, 3, v42
	s_waitcnt vmcnt(18)
	v_lshrrev_b32_e32 v0, 16, v4
	v_mul_f16_sdwa v1, v41, v0 dst_sel:DWORD dst_unused:UNUSED_PAD src0_sel:WORD_1 src1_sel:DWORD
	v_fma_f16 v1, v41, v4, v1
	v_mul_f16_sdwa v4, v41, v4 dst_sel:DWORD dst_unused:UNUSED_PAD src0_sel:WORD_1 src1_sel:DWORD
	v_fma_f16 v0, v41, v0, -v4
	v_pack_b32_f16 v0, v1, v0
	s_waitcnt vmcnt(17)
	v_lshrrev_b32_e32 v1, 16, v5
	s_waitcnt vmcnt(16)
	v_mul_f16_sdwa v4, v39, v1 dst_sel:DWORD dst_unused:UNUSED_PAD src0_sel:WORD_1 src1_sel:DWORD
	v_fma_f16 v4, v39, v5, v4
	v_mul_f16_sdwa v5, v39, v5 dst_sel:DWORD dst_unused:UNUSED_PAD src0_sel:WORD_1 src1_sel:DWORD
	v_fma_f16 v1, v39, v1, -v5
	v_pack_b32_f16 v1, v4, v1
	ds_write_b32 v37, v1 offset:1560
	s_waitcnt vmcnt(15)
	v_lshrrev_b32_e32 v1, 16, v2
	s_waitcnt vmcnt(14)
	v_mul_f16_sdwa v4, v38, v1 dst_sel:DWORD dst_unused:UNUSED_PAD src0_sel:WORD_1 src1_sel:DWORD
	v_fma_f16 v4, v38, v2, v4
	v_mul_f16_sdwa v2, v38, v2 dst_sel:DWORD dst_unused:UNUSED_PAD src0_sel:WORD_1 src1_sel:DWORD
	v_fma_f16 v1, v38, v1, -v2
	v_pack_b32_f16 v1, v4, v1
	ds_write2_b32 v37, v0, v1 offset1:78
	s_waitcnt vmcnt(13)
	v_lshrrev_b32_e32 v0, 16, v3
	s_waitcnt vmcnt(12)
	v_mul_f16_sdwa v1, v36, v0 dst_sel:DWORD dst_unused:UNUSED_PAD src0_sel:WORD_1 src1_sel:DWORD
	v_mul_f16_sdwa v2, v36, v3 dst_sel:DWORD dst_unused:UNUSED_PAD src0_sel:WORD_1 src1_sel:DWORD
	v_fma_f16 v1, v36, v3, v1
	v_fma_f16 v0, v36, v0, -v2
	v_pack_b32_f16 v0, v1, v0
	s_waitcnt vmcnt(11)
	v_lshrrev_b32_e32 v1, 16, v6
	s_waitcnt vmcnt(10)
	v_mul_f16_sdwa v2, v35, v1 dst_sel:DWORD dst_unused:UNUSED_PAD src0_sel:WORD_1 src1_sel:DWORD
	v_mul_f16_sdwa v3, v35, v6 dst_sel:DWORD dst_unused:UNUSED_PAD src0_sel:WORD_1 src1_sel:DWORD
	v_fma_f16 v2, v35, v6, v2
	v_fma_f16 v1, v35, v1, -v3
	v_pack_b32_f16 v1, v2, v1
	;; [unrolled: 8-line block ×3, first 2 shown]
	v_add_u32_e32 v3, 0x600, v37
	ds_write2_b32 v3, v0, v2 offset0:84 offset1:162
	s_waitcnt vmcnt(7)
	v_lshrrev_b32_e32 v0, 16, v8
	s_waitcnt vmcnt(6)
	v_mul_f16_sdwa v2, v33, v0 dst_sel:DWORD dst_unused:UNUSED_PAD src0_sel:WORD_1 src1_sel:DWORD
	v_mul_f16_sdwa v4, v33, v8 dst_sel:DWORD dst_unused:UNUSED_PAD src0_sel:WORD_1 src1_sel:DWORD
	v_fma_f16 v2, v33, v8, v2
	v_fma_f16 v0, v33, v0, -v4
	v_pack_b32_f16 v0, v2, v0
	ds_write2_b32 v37, v1, v0 offset0:156 offset1:234
	s_waitcnt vmcnt(5)
	v_lshrrev_b32_e32 v0, 16, v9
	s_waitcnt vmcnt(4)
	v_mul_f16_sdwa v1, v32, v0 dst_sel:DWORD dst_unused:UNUSED_PAD src0_sel:WORD_1 src1_sel:DWORD
	v_mul_f16_sdwa v2, v32, v9 dst_sel:DWORD dst_unused:UNUSED_PAD src0_sel:WORD_1 src1_sel:DWORD
	v_fma_f16 v1, v32, v9, v1
	v_fma_f16 v0, v32, v0, -v2
	v_pack_b32_f16 v0, v1, v0
	s_waitcnt vmcnt(3)
	v_lshrrev_b32_e32 v1, 16, v10
	s_waitcnt vmcnt(2)
	v_mul_f16_sdwa v2, v31, v1 dst_sel:DWORD dst_unused:UNUSED_PAD src0_sel:WORD_1 src1_sel:DWORD
	v_mul_f16_sdwa v4, v31, v10 dst_sel:DWORD dst_unused:UNUSED_PAD src0_sel:WORD_1 src1_sel:DWORD
	v_fma_f16 v2, v31, v10, v2
	v_fma_f16 v1, v31, v1, -v4
	v_pack_b32_f16 v1, v2, v1
	ds_write_b32 v37, v1 offset:1248
	s_waitcnt vmcnt(1)
	v_lshrrev_b32_e32 v1, 16, v11
	s_waitcnt vmcnt(0)
	v_mul_f16_sdwa v2, v30, v1 dst_sel:DWORD dst_unused:UNUSED_PAD src0_sel:WORD_1 src1_sel:DWORD
	v_mul_f16_sdwa v4, v30, v11 dst_sel:DWORD dst_unused:UNUSED_PAD src0_sel:WORD_1 src1_sel:DWORD
	v_fma_f16 v2, v30, v11, v2
	v_fma_f16 v1, v30, v1, -v4
	v_pack_b32_f16 v1, v2, v1
	ds_write2_b32 v14, v0, v1 offset0:112 offset1:190
	s_waitcnt lgkmcnt(0)
	s_barrier
	ds_read2_b32 v[0:1], v3 offset0:84 offset1:162
	ds_read2_b32 v[2:3], v37 offset0:156 offset1:234
	;; [unrolled: 1-line block ×3, first 2 shown]
	ds_read2_b32 v[6:7], v37 offset1:78
	ds_read2_b32 v[12:13], v15 offset0:56 offset1:134
	v_add_co_u32_e32 v11, vcc, s0, v40
	s_waitcnt lgkmcnt(3)
	v_pk_add_f16 v9, v2, v1 neg_lo:[0,1] neg_hi:[0,1]
	s_waitcnt lgkmcnt(1)
	v_pk_add_f16 v1, v7, v0 neg_lo:[0,1] neg_hi:[0,1]
	v_pk_fma_f16 v8, v2, 2.0, v9 op_sel_hi:[1,0,1] neg_lo:[0,0,1] neg_hi:[0,0,1]
	v_pk_fma_f16 v0, v7, 2.0, v1 op_sel_hi:[1,0,1] neg_lo:[0,0,1] neg_hi:[0,0,1]
	s_waitcnt lgkmcnt(0)
	v_pk_add_f16 v7, v6, v13 neg_lo:[0,1] neg_hi:[0,1]
	v_lshlrev_b16_e32 v2, 1, v40
	v_pk_fma_f16 v6, v6, 2.0, v7 op_sel_hi:[1,0,1] neg_lo:[0,0,1] neg_hi:[0,0,1]
	v_lshl_add_u32 v46, v2, 2, v42
	s_movk_i32 s0, 0xea
	v_pk_add_f16 v4, v3, v4 neg_lo:[0,1] neg_hi:[0,1]
	s_barrier
	ds_write_b64 v46, v[6:7]
	ds_write_b64 v47, v[0:1]
	v_add_co_u32_e32 v10, vcc, s0, v40
	v_pk_add_f16 v1, v12, v5 neg_lo:[0,1] neg_hi:[0,1]
	v_pk_fma_f16 v3, v3, 2.0, v4 op_sel_hi:[1,0,1] neg_lo:[0,0,1] neg_hi:[0,0,1]
	v_lshl_add_u32 v48, v11, 3, v42
	v_lshl_add_u32 v49, v10, 3, v42
	v_pk_fma_f16 v0, v12, 2.0, v1 op_sel_hi:[1,0,1] neg_lo:[0,0,1] neg_hi:[0,0,1]
	ds_write_b64 v48, v[8:9]
	ds_write_b64 v49, v[3:4]
	ds_write_b64 v56, v[0:1] offset:2496
	v_add_u32_e32 v0, 0x200, v37
	s_waitcnt lgkmcnt(0)
	s_barrier
	ds_read2_b32 v[2:3], v0 offset0:28 offset1:132
	ds_read2_b32 v[6:7], v14 offset0:8 offset1:86
	;; [unrolled: 1-line block ×3, first 2 shown]
	ds_read_b32 v0, v37 offset:2704
	ds_read2_b32 v[4:5], v37 offset1:78
	v_cmp_gt_u16_e32 vcc, 26, v40
                                        ; implicit-def: $vgpr12
                                        ; implicit-def: $vgpr14
                                        ; implicit-def: $vgpr13
                                        ; implicit-def: $vgpr15
	s_and_saveexec_b64 s[0:1], vcc
	s_cbranch_execz .LBB0_3
; %bb.2:
	ds_read_b32 v12, v37 offset:1976
	ds_read_b32 v13, v37 offset:3016
	ds_read_b32 v1, v37 offset:936
	s_waitcnt lgkmcnt(2)
	v_lshrrev_b32_e32 v14, 16, v12
	s_waitcnt lgkmcnt(1)
	v_lshrrev_b32_e32 v15, 16, v13
.LBB0_3:
	s_or_b64 exec, exec, s[0:1]
	v_and_b32_e32 v45, 1, v40
	v_lshlrev_b32_e32 v17, 3, v45
	global_load_dwordx2 v[17:18], v17, s[14:15]
	s_waitcnt lgkmcnt(4)
	v_lshrrev_b32_e32 v21, 16, v3
	s_waitcnt lgkmcnt(2)
	v_lshrrev_b32_e32 v23, 16, v8
	v_lshrrev_b32_e32 v24, 16, v7
	;; [unrolled: 1-line block ×3, first 2 shown]
	s_waitcnt lgkmcnt(1)
	v_lshrrev_b32_e32 v26, 16, v0
	v_lshrrev_b32_e32 v22, 16, v6
	s_waitcnt lgkmcnt(0)
	v_lshrrev_b32_e32 v27, 16, v5
	v_lshrrev_b32_e32 v28, 16, v2
	;; [unrolled: 1-line block ×3, first 2 shown]
	s_movk_i32 s0, 0x3aee
	s_mov_b32 s1, 0xbaee
	s_waitcnt vmcnt(0)
	s_barrier
	v_mul_f16_sdwa v43, v23, v17 dst_sel:DWORD dst_unused:UNUSED_PAD src0_sel:DWORD src1_sel:WORD_1
	v_mul_f16_sdwa v44, v8, v17 dst_sel:DWORD dst_unused:UNUSED_PAD src0_sel:DWORD src1_sel:WORD_1
	;; [unrolled: 1-line block ×16, first 2 shown]
	v_fma_f16 v8, v8, v17, -v43
	v_fma_f16 v23, v23, v17, v44
	v_fma_f16 v7, v7, v18, -v51
	v_fma_f16 v24, v24, v18, v52
	;; [unrolled: 2-line block ×3, first 2 shown]
	v_fma_f16 v51, v13, v18, -v55
	v_fma_f16 v9, v9, v17, -v60
	v_fma_f16 v13, v22, v18, v59
	v_fma_f16 v12, v21, v17, v62
	;; [unrolled: 1-line block ×3, first 2 shown]
	v_fma_f16 v0, v0, v18, -v64
	v_fma_f16 v3, v3, v17, -v63
	v_fma_f16 v21, v26, v18, v65
	v_fma_f16 v52, v15, v18, v57
	v_fma_f16 v6, v6, v18, -v58
	v_add_f16_e32 v15, v8, v7
	v_sub_f16_e32 v22, v23, v24
	v_add_f16_e32 v54, v4, v3
	v_add_f16_e32 v55, v5, v8
	;; [unrolled: 1-line block ×7, first 2 shown]
	v_sub_f16_e32 v64, v14, v21
	v_add_f16_e32 v63, v28, v14
	v_add_f16_e32 v14, v14, v21
	v_add_f16_e32 v25, v43, v51
	v_add_f16_e32 v53, v3, v6
	v_sub_f16_e32 v3, v3, v6
	v_sub_f16_e32 v58, v12, v13
	;; [unrolled: 1-line block ×3, first 2 shown]
	v_add_f16_e32 v60, v20, v12
	v_fma_f16 v5, v15, -0.5, v5
	v_add_f16_e32 v12, v54, v6
	v_add_f16_e32 v15, v55, v7
	v_fma_f16 v2, v57, -0.5, v2
	v_fma_f16 v6, v61, -0.5, v20
	;; [unrolled: 1-line block ×4, first 2 shown]
	v_add_f16_e32 v23, v59, v0
	v_sub_f16_e32 v0, v9, v0
	v_fma_f16 v65, v25, -0.5, v1
	v_add_f16_e32 v57, v62, v24
	v_fma_f16 v24, v64, s0, v2
	v_fma_f16 v27, v64, s1, v2
	;; [unrolled: 1-line block ×4, first 2 shown]
	v_add_f16_e32 v0, v1, v43
	v_lshrrev_b32_e32 v1, 16, v1
	v_add_f16_e32 v2, v1, v44
	v_add_f16_e32 v74, v2, v52
	;; [unrolled: 1-line block ×3, first 2 shown]
	v_fma_f16 v1, v2, -0.5, v1
	v_sub_f16_e32 v2, v43, v51
	v_fma_f16 v75, v2, s1, v1
	v_fma_f16 v76, v2, s0, v1
	v_lshrrev_b32_e32 v1, 1, v40
	v_fma_f16 v4, v53, -0.5, v4
	v_mul_u32_u24_e32 v1, 6, v1
	v_add_f16_e32 v55, v60, v13
	v_fma_f16 v13, v58, s0, v4
	v_fma_f16 v14, v58, s1, v4
	;; [unrolled: 1-line block ×3, first 2 shown]
	v_or_b32_e32 v1, v1, v45
	v_fma_f16 v62, v3, s0, v6
	v_add_f16_e32 v28, v0, v51
	v_lshl_add_u32 v51, v1, 2, v42
	v_pack_b32_f16 v1, v12, v55
	v_pack_b32_f16 v2, v13, v58
	ds_write2_b32 v51, v1, v2 offset1:2
	v_pack_b32_f16 v1, v14, v62
	ds_write_b32 v51, v1 offset:16
	v_lshrrev_b32_e32 v1, 1, v19
	v_mul_u32_u24_e32 v1, 6, v1
	v_add_f16_e32 v60, v63, v21
	v_fma_f16 v21, v22, s0, v5
	v_fma_f16 v63, v8, s1, v7
	v_or_b32_e32 v1, v1, v45
	v_sub_f16_e32 v26, v44, v52
	v_fma_f16 v22, v22, s1, v5
	v_fma_f16 v61, v8, s0, v7
	v_lshl_add_u32 v52, v1, 2, v42
	v_pack_b32_f16 v1, v15, v57
	v_pack_b32_f16 v2, v21, v63
	ds_write2_b32 v52, v1, v2 offset1:2
	v_pack_b32_f16 v1, v22, v61
	ds_write_b32 v52, v1 offset:16
	v_lshrrev_b32_e32 v1, 1, v11
	v_mul_u32_u24_e32 v1, 6, v1
	v_or_b32_e32 v1, v1, v45
	v_lshl_add_u32 v54, v1, 2, v42
	v_pack_b32_f16 v1, v23, v60
	v_pack_b32_f16 v2, v24, v64
	v_fma_f16 v25, v26, s0, v65
	v_fma_f16 v26, v26, s1, v65
	v_mov_b32_e32 v0, s13
	ds_write2_b32 v54, v1, v2 offset1:2
	v_pack_b32_f16 v1, v27, v66
	v_lshrrev_b32_e32 v53, 1, v10
	ds_write_b32 v54, v1 offset:16
	s_and_saveexec_b64 s[0:1], vcc
	s_cbranch_execz .LBB0_5
; %bb.4:
	v_mul_u32_u24_e32 v1, 6, v53
	v_or_b32_e32 v1, v1, v45
	s_mov_b32 s2, 0x5040100
	v_lshl_add_u32 v1, v1, 2, v42
	v_perm_b32 v2, v74, v28, s2
	v_perm_b32 v3, v75, v25, s2
	ds_write2_b32 v1, v2, v3 offset1:2
	v_perm_b32 v2, v76, v26, s2
	ds_write_b32 v1, v2 offset:16
.LBB0_5:
	s_or_b64 exec, exec, s[0:1]
	v_add_co_u32_e64 v19, s[0:1], s12, v29
	v_addc_co_u32_e64 v20, s[0:1], 0, v0, s[0:1]
	v_cmp_gt_u16_e64 s[0:1], 60, v40
	s_waitcnt lgkmcnt(0)
	s_barrier
	s_waitcnt lgkmcnt(0)
                                        ; implicit-def: $vgpr77
                                        ; implicit-def: $vgpr78
	s_and_saveexec_b64 s[2:3], s[0:1]
	s_cbranch_execz .LBB0_7
; %bb.6:
	v_add_u32_e32 v0, 0x200, v37
	ds_read2_b32 v[12:13], v37 offset1:60
	ds_read2_b32 v[14:15], v37 offset0:120 offset1:180
	ds_read2_b32 v[21:22], v0 offset0:112 offset1:172
	v_add_u32_e32 v0, 0x400, v37
	ds_read2_b32 v[23:24], v0 offset0:104 offset1:164
	v_add_u32_e32 v0, 0x600, v37
	;; [unrolled: 2-line block ×3, first 2 shown]
	ds_read2_b32 v[25:26], v0 offset0:88 offset1:148
	ds_read_b32 v77, v37 offset:2880
	s_waitcnt lgkmcnt(6)
	v_lshrrev_b32_e32 v55, 16, v12
	v_lshrrev_b32_e32 v58, 16, v13
	s_waitcnt lgkmcnt(5)
	v_lshrrev_b32_e32 v62, 16, v14
	v_lshrrev_b32_e32 v57, 16, v15
	;; [unrolled: 3-line block ×6, first 2 shown]
	s_waitcnt lgkmcnt(0)
	v_lshrrev_b32_e32 v78, 16, v77
.LBB0_7:
	s_or_b64 exec, exec, s[2:3]
	s_movk_i32 s2, 0xab
	v_mul_lo_u16_sdwa v0, v40, s2 dst_sel:DWORD dst_unused:UNUSED_PAD src0_sel:BYTE_0 src1_sel:DWORD
	v_lshrrev_b16_e32 v43, 10, v0
	v_mul_lo_u16_e32 v0, 6, v43
	v_sub_u16_e32 v0, v40, v0
	v_and_b32_e32 v44, 0xff, v0
	v_mad_u64_u32 v[67:68], s[2:3], v44, 48, s[14:15]
	s_movk_i32 s6, 0x3b15
	s_movk_i32 s7, 0x388b
	global_load_dwordx4 v[4:7], v[67:68], off offset:16
	global_load_dwordx4 v[0:3], v[67:68], off offset:32
	global_load_dwordx4 v[8:11], v[67:68], off offset:48
	s_mov_b32 s16, 0xb5ac
	s_movk_i32 s17, 0x2fb7
	s_mov_b32 s18, 0xbbc4
	s_mov_b32 s19, 0xb9fd
	;; [unrolled: 1-line block ×7, first 2 shown]
	s_movk_i32 s28, 0x3b7b
	s_movk_i32 s23, 0x394e
	;; [unrolled: 1-line block ×3, first 2 shown]
	s_mov_b32 s26, 0xb94e
	s_movk_i32 s25, 0x3bf1
	s_waitcnt vmcnt(0)
	s_barrier
	v_mul_f16_sdwa v68, v13, v4 dst_sel:DWORD dst_unused:UNUSED_PAD src0_sel:DWORD src1_sel:WORD_1
	v_mul_f16_sdwa v59, v62, v5 dst_sel:DWORD dst_unused:UNUSED_PAD src0_sel:DWORD src1_sel:WORD_1
	;; [unrolled: 1-line block ×18, first 2 shown]
	v_fma_f16 v59, v14, v5, -v59
	v_fma_f16 v14, v58, v4, v68
	v_fma_f16 v58, v63, v7, v72
	v_fma_f16 v72, v27, v3, -v84
	v_fma_f16 v27, v66, v3, v85
	v_fma_f16 v66, v78, v11, v93
	v_mul_f16_sdwa v80, v60, v1 dst_sel:DWORD dst_unused:UNUSED_PAD src0_sel:DWORD src1_sel:WORD_1
	v_mul_f16_sdwa v81, v23, v1 dst_sel:DWORD dst_unused:UNUSED_PAD src0_sel:DWORD src1_sel:WORD_1
	v_fma_f16 v65, v15, v6, -v65
	v_fma_f16 v15, v62, v5, v69
	v_fma_f16 v57, v57, v6, v70
	v_fma_f16 v70, v13, v4, -v67
	v_fma_f16 v68, v22, v0, -v73
	;; [unrolled: 1-line block ×3, first 2 shown]
	v_fma_f16 v28, v74, v8, v87
	v_fma_f16 v74, v25, v9, -v88
	v_fma_f16 v25, v75, v9, v89
	v_fma_f16 v75, v26, v10, -v90
	v_fma_f16 v26, v76, v10, v91
	v_fma_f16 v76, v77, v11, -v92
	v_sub_f16_e32 v113, v14, v66
	v_mul_f16_sdwa v71, v63, v7 dst_sel:DWORD dst_unused:UNUSED_PAD src0_sel:DWORD src1_sel:WORD_1
	v_mul_f16_sdwa v82, v64, v2 dst_sel:DWORD dst_unused:UNUSED_PAD src0_sel:DWORD src1_sel:WORD_1
	v_fma_f16 v69, v23, v1, -v80
	v_fma_f16 v23, v60, v1, v81
	v_add_f16_e32 v88, v70, v76
	v_sub_f16_e32 v114, v15, v26
	v_mul_f16_e32 v77, 0xb770, v113
	v_mul_f16_e32 v81, 0xba95, v113
	v_mul_f16_sdwa v79, v22, v0 dst_sel:DWORD dst_unused:UNUSED_PAD src0_sel:DWORD src1_sel:WORD_1
	v_fma_f16 v67, v21, v7, -v71
	v_fma_f16 v71, v24, v2, -v82
	v_sub_f16_e32 v93, v70, v76
	v_add_f16_e32 v90, v59, v75
	v_mul_f16_e32 v78, 0xba95, v114
	v_mul_f16_e32 v82, 0xbb7b, v114
	v_mul_f16_e32 v86, 0xbbf1, v113
	v_fma_f16 v21, v88, s6, v77
	v_fma_f16 v62, v88, s7, v81
	v_mul_f16_sdwa v83, v24, v2 dst_sel:DWORD dst_unused:UNUSED_PAD src0_sel:DWORD src1_sel:WORD_1
	v_fma_f16 v13, v61, v0, v79
	v_add_f16_e32 v119, v14, v66
	v_sub_f16_e32 v94, v59, v75
	v_mul_f16_e32 v79, 0xb770, v93
	v_mul_f16_e32 v85, 0xba95, v93
	v_fma_f16 v60, v90, s7, v78
	v_fma_f16 v63, v90, s16, v82
	;; [unrolled: 1-line block ×3, first 2 shown]
	v_add_f16_e32 v21, v12, v21
	v_add_f16_e32 v62, v12, v62
	v_mul_f16_e32 v92, 0xb3a8, v114
	v_fma_f16 v24, v64, v2, v83
	v_add_f16_e32 v121, v15, v26
	v_mul_f16_e32 v80, 0xba95, v94
	v_mul_f16_e32 v84, 0xbb7b, v94
	v_fma_f16 v22, v119, s6, -v79
	v_fma_f16 v64, v119, s7, -v85
	v_add_f16_e32 v21, v60, v21
	v_add_f16_e32 v60, v63, v62
	;; [unrolled: 1-line block ×3, first 2 shown]
	v_fma_f16 v63, v90, s18, v92
	v_mul_f16_e32 v97, 0xbbf1, v93
	v_fma_f16 v61, v121, s7, -v80
	v_fma_f16 v83, v121, s16, -v84
	v_add_f16_e32 v22, v55, v22
	v_add_f16_e32 v64, v55, v64
	v_add_f16_e32 v62, v63, v62
	v_fma_f16 v63, v119, s17, -v97
	v_mul_f16_e32 v98, 0xb3a8, v94
	v_sub_f16_e32 v126, v57, v25
	v_add_f16_e32 v22, v61, v22
	v_add_f16_e32 v61, v83, v64
	;; [unrolled: 1-line block ×3, first 2 shown]
	v_fma_f16 v64, v121, s18, -v98
	v_add_f16_e32 v102, v65, v74
	v_mul_f16_e32 v83, 0xbbf1, v126
	v_sub_f16_e32 v107, v65, v74
	v_add_f16_e32 v63, v64, v63
	v_fma_f16 v64, v102, s17, v83
	v_add_f16_e32 v129, v57, v25
	v_mul_f16_e32 v87, 0xbbf1, v107
	v_add_f16_e32 v21, v64, v21
	v_fma_f16 v64, v129, s17, -v87
	v_mul_f16_e32 v91, 0xb3a8, v126
	v_add_f16_e32 v22, v64, v22
	v_fma_f16 v64, v102, s18, v91
	v_mul_f16_e32 v96, 0xb3a8, v107
	v_add_f16_e32 v60, v64, v60
	v_fma_f16 v64, v129, s18, -v96
	v_mul_f16_e32 v101, 0x3b7b, v126
	v_add_f16_e32 v61, v64, v61
	v_fma_f16 v64, v102, s16, v101
	v_mul_f16_e32 v105, 0x3b7b, v107
	v_sub_f16_e32 v131, v58, v28
	v_add_f16_e32 v62, v64, v62
	v_fma_f16 v64, v129, s16, -v105
	v_add_f16_e32 v110, v67, v73
	v_mul_f16_e32 v89, 0xbb7b, v131
	v_sub_f16_e32 v117, v67, v73
	v_add_f16_e32 v63, v64, v63
	v_fma_f16 v64, v110, s16, v89
	v_add_f16_e32 v132, v58, v28
	v_mul_f16_e32 v95, 0xbb7b, v117
	v_add_f16_e32 v21, v64, v21
	v_fma_f16 v64, v132, s16, -v95
	v_mul_f16_e32 v100, 0x394e, v131
	v_add_f16_e32 v22, v64, v22
	v_fma_f16 v64, v110, s19, v100
	v_mul_f16_e32 v104, 0x394e, v117
	v_add_f16_e32 v60, v64, v60
	v_fma_f16 v64, v132, s19, -v104
	v_mul_f16_e32 v109, 0x3770, v131
	v_add_f16_e32 v61, v64, v61
	v_fma_f16 v64, v110, s6, v109
	v_mul_f16_e32 v115, 0x3770, v117
	v_sub_f16_e32 v133, v13, v27
	v_add_f16_e32 v62, v64, v62
	;; [unrolled: 22-line block ×3, first 2 shown]
	v_fma_f16 v60, v134, s7, -v123
	v_add_f16_e32 v127, v69, v71
	v_mul_f16_e32 v106, 0xb3a8, v135
	v_sub_f16_e32 v130, v69, v71
	v_add_f16_e32 v137, v60, v63
	v_fma_f16 v60, v127, s18, v106
	v_add_f16_e32 v136, v23, v24
	v_mul_f16_e32 v111, 0xb3a8, v130
	v_add_f16_e32 v60, v60, v21
	v_fma_f16 v21, v136, s18, -v111
	v_mul_f16_e32 v122, 0x3770, v130
	v_add_f16_e32 v61, v21, v22
	v_fma_f16 v22, v136, s6, -v122
	v_add_f16_e32 v62, v22, v125
	v_mul_f16_e32 v125, 0xb94e, v135
	v_fma_f16 v22, v127, s19, v125
	v_mul_f16_e32 v116, 0x3770, v135
	v_add_f16_e32 v63, v22, v128
	v_mul_f16_e32 v128, 0xb94e, v130
	v_fma_f16 v21, v127, s6, v116
	v_fma_f16 v22, v136, s19, -v128
	v_add_f16_e32 v21, v21, v64
	v_add_f16_e32 v64, v22, v137
	v_add_u32_e32 v22, 0x9c0, v56
	s_and_saveexec_b64 s[2:3], s[0:1]
	s_cbranch_execz .LBB0_9
; %bb.8:
	v_mul_f16_e32 v172, 0xb5ac, v119
	v_fma_f16 v173, v93, s28, v172
	v_mul_f16_e32 v174, 0xb9fd, v121
	v_add_f16_e32 v173, v55, v173
	v_fma_f16 v175, v94, s26, v174
	v_add_f16_e32 v173, v175, v173
	v_mul_f16_e32 v175, 0x3b15, v129
	v_fma_f16 v176, v107, s29, v175
	v_add_f16_e32 v173, v176, v173
	v_mul_f16_e32 v176, 0x2fb7, v132
	;; [unrolled: 3-line block ×5, first 2 shown]
	v_fma_f16 v180, v88, s16, v179
	v_mul_f16_e32 v181, 0x394e, v114
	v_add_f16_e32 v180, v12, v180
	v_fma_f16 v182, v90, s19, v181
	v_add_f16_e32 v180, v182, v180
	v_mul_f16_e32 v182, 0x3770, v126
	v_fma_f16 v183, v102, s6, v182
	v_add_f16_e32 v180, v183, v180
	v_mul_f16_e32 v183, 0xbbf1, v131
	;; [unrolled: 3-line block ×5, first 2 shown]
	v_fma_f16 v187, v93, s23, v186
	v_mul_f16_e32 v188, 0x2fb7, v121
	v_add_f16_e32 v187, v55, v187
	v_fma_f16 v189, v94, s20, v188
	s_movk_i32 s31, 0x3a95
	v_add_f16_e32 v187, v189, v187
	v_mul_f16_e32 v189, 0x388b, v129
	v_fma_f16 v190, v107, s31, v189
	v_add_f16_e32 v187, v190, v187
	v_mul_f16_e32 v190, 0xbbc4, v132
	v_fma_f16 v191, v117, s27, v190
	;; [unrolled: 3-line block ×5, first 2 shown]
	v_mul_f16_e32 v195, 0x3bf1, v114
	v_add_f16_e32 v194, v12, v194
	v_fma_f16 v196, v90, s17, v195
	v_add_f16_e32 v194, v196, v194
	v_mul_f16_e32 v196, 0xba95, v126
	v_fma_f16 v197, v102, s7, v196
	v_add_f16_e32 v194, v197, v194
	v_mul_f16_e32 v197, 0x33a8, v131
	;; [unrolled: 3-line block ×4, first 2 shown]
	v_mul_f16_e32 v137, 0x3b15, v119
	v_mul_f16_e32 v139, 0x388b, v119
	;; [unrolled: 1-line block ×3, first 2 shown]
	s_movk_i32 s30, 0x33a8
	v_fma_f16 v200, v127, s16, v199
	v_mul_f16_e32 v119, 0xbbc4, v119
	v_mul_f16_e32 v143, 0x388b, v121
	v_mul_f16_e32 v145, 0xb5ac, v121
	v_mul_f16_e32 v147, 0xbbc4, v121
	v_add_f16_e32 v194, v200, v194
	v_fma_f16 v200, v93, s30, v119
	v_mul_f16_e32 v121, 0x3b15, v121
	v_mul_f16_e32 v149, 0x2fb7, v129
	v_mul_f16_e32 v151, 0xbbc4, v129
	v_mul_f16_e32 v153, 0xb5ac, v129
	v_add_f16_e32 v200, v55, v200
	;; [unrolled: 6-line block ×5, first 2 shown]
	v_fma_f16 v201, v124, s28, v134
	v_mul_f16_e32 v136, 0x2fb7, v136
	v_add_f16_e32 v200, v201, v200
	v_fma_f16 v201, v130, s20, v136
	v_mul_f16_e32 v113, 0xb3a8, v113
	v_add_f16_e32 v200, v201, v200
	v_fma_f16 v201, v88, s18, v113
	v_mul_f16_e32 v114, 0x3770, v114
	v_fma_f16 v113, v88, s18, -v113
	v_fma_f16 v202, v90, s6, v114
	v_mul_f16_e32 v126, 0xb94e, v126
	v_fma_f16 v119, v93, s27, v119
	v_add_f16_e32 v113, v12, v113
	v_fma_f16 v114, v90, s6, -v114
	v_mul_f16_e32 v131, 0x3a95, v131
	v_add_f16_e32 v119, v55, v119
	v_fma_f16 v121, v94, s22, v121
	v_add_f16_e32 v113, v114, v113
	v_fma_f16 v114, v102, s19, -v126
	v_mul_f16_e32 v133, 0xbb7b, v133
	v_add_f16_e32 v119, v121, v119
	;; [unrolled: 5-line block ×3, first 2 shown]
	v_fma_f16 v121, v117, s31, v132
	v_add_f16_e32 v113, v114, v113
	v_fma_f16 v114, v120, s16, -v133
	v_add_f16_e32 v119, v121, v119
	v_fma_f16 v121, v124, s21, v134
	v_add_f16_e32 v113, v114, v113
	v_fma_f16 v114, v127, s17, -v135
	v_add_f16_e32 v119, v121, v119
	v_fma_f16 v121, v130, s25, v136
	v_add_f16_e32 v113, v114, v113
	v_fma_f16 v114, v93, s26, v186
	v_add_f16_e32 v119, v121, v119
	v_add_f16_e32 v114, v55, v114
	v_fma_f16 v121, v94, s25, v188
	v_add_f16_e32 v114, v121, v114
	v_fma_f16 v121, v107, s24, v189
	;; [unrolled: 2-line block ×4, first 2 shown]
	v_mul_f16_e32 v56, 0x3b15, v88
	v_mul_f16_e32 v138, 0x388b, v88
	;; [unrolled: 1-line block ×3, first 2 shown]
	v_add_f16_e32 v114, v121, v114
	v_fma_f16 v121, v130, s21, v192
	v_add_f16_e32 v114, v121, v114
	v_fma_f16 v121, v88, s19, -v193
	v_fma_f16 v88, v88, s16, -v179
	v_sub_f16_e32 v86, v140, v86
	v_sub_f16_e32 v81, v138, v81
	;; [unrolled: 1-line block ×3, first 2 shown]
	v_add_f16_e32 v201, v12, v201
	v_add_f16_e32 v121, v12, v121
	;; [unrolled: 1-line block ×8, first 2 shown]
	v_mul_f16_e32 v142, 0x388b, v90
	v_mul_f16_e32 v144, 0xb5ac, v90
	;; [unrolled: 1-line block ×3, first 2 shown]
	v_add_f16_e32 v201, v202, v201
	v_fma_f16 v202, v102, s19, v126
	v_fma_f16 v126, v90, s17, -v195
	v_fma_f16 v93, v93, s21, v172
	v_fma_f16 v90, v90, s19, -v181
	v_add_f16_e32 v12, v12, v59
	v_add_f16_e32 v14, v14, v15
	v_add_f16_e32 v93, v55, v93
	v_fma_f16 v94, v94, s23, v174
	v_add_f16_e32 v88, v90, v88
	v_fma_f16 v90, v102, s6, -v182
	v_add_f16_e32 v12, v12, v65
	v_add_f16_e32 v14, v14, v57
	v_add_f16_e32 v93, v94, v93
	v_fma_f16 v94, v107, s22, v175
	v_add_f16_e32 v88, v90, v88
	;; [unrolled: 6-line block ×4, first 2 shown]
	v_fma_f16 v90, v127, s7, -v185
	v_add_f16_e32 v79, v79, v137
	v_add_f16_e32 v12, v12, v69
	;; [unrolled: 1-line block ×3, first 2 shown]
	v_mul_f16_e32 v148, 0x2fb7, v102
	v_add_f16_e32 v93, v94, v93
	v_fma_f16 v94, v130, s31, v178
	v_add_f16_e32 v88, v90, v88
	v_add_f16_e32 v90, v97, v141
	;; [unrolled: 1-line block ×5, first 2 shown]
	v_sub_f16_e32 v77, v142, v78
	v_add_f16_e32 v12, v12, v71
	v_add_f16_e32 v13, v13, v24
	v_mul_f16_e32 v150, 0xbbc4, v102
	v_mul_f16_e32 v152, 0xb5ac, v102
	;; [unrolled: 1-line block ×3, first 2 shown]
	v_add_f16_e32 v93, v94, v93
	v_add_f16_e32 v90, v55, v90
	;; [unrolled: 1-line block ×3, first 2 shown]
	v_sub_f16_e32 v92, v146, v92
	v_add_f16_e32 v85, v55, v85
	v_add_f16_e32 v84, v84, v145
	v_sub_f16_e32 v82, v144, v82
	v_add_f16_e32 v79, v80, v79
	v_add_f16_e32 v80, v87, v149
	;; [unrolled: 1-line block ×3, first 2 shown]
	v_sub_f16_e32 v77, v148, v83
	v_add_f16_e32 v12, v12, v72
	v_add_f16_e32 v13, v13, v27
	v_mul_f16_e32 v156, 0xb9fd, v110
	v_mul_f16_e32 v158, 0x3b15, v110
	;; [unrolled: 1-line block ×3, first 2 shown]
	v_add_f16_e32 v90, v94, v90
	v_add_f16_e32 v94, v105, v153
	v_add_f16_e32 v86, v92, v86
	v_sub_f16_e32 v92, v152, v101
	v_add_f16_e32 v84, v84, v85
	v_add_f16_e32 v85, v96, v151
	v_add_f16_e32 v81, v82, v81
	v_sub_f16_e32 v82, v150, v91
	;; [unrolled: 4-line block ×3, first 2 shown]
	v_add_f16_e32 v12, v12, v73
	v_add_f16_e32 v13, v13, v28
	v_mul_f16_e32 v162, 0x2fb7, v120
	v_mul_f16_e32 v164, 0x388b, v120
	;; [unrolled: 1-line block ×3, first 2 shown]
	v_add_f16_e32 v121, v126, v121
	v_fma_f16 v126, v102, s7, -v196
	v_add_f16_e32 v90, v94, v90
	v_add_f16_e32 v94, v115, v159
	v_add_f16_e32 v86, v92, v86
	v_sub_f16_e32 v92, v158, v109
	v_add_f16_e32 v84, v85, v84
	v_add_f16_e32 v85, v104, v157
	v_add_f16_e32 v81, v82, v81
	v_sub_f16_e32 v82, v156, v100
	;; [unrolled: 4-line block ×3, first 2 shown]
	v_add_f16_e32 v12, v12, v74
	v_add_f16_e32 v13, v13, v25
	v_mul_f16_e32 v168, 0x3b15, v127
	v_mul_f16_e32 v170, 0xb9fd, v127
	v_add_f16_e32 v121, v126, v121
	v_fma_f16 v126, v110, s18, -v197
	v_add_f16_e32 v90, v94, v90
	v_add_f16_e32 v94, v123, v165
	v_add_f16_e32 v86, v92, v86
	v_sub_f16_e32 v92, v164, v118
	v_add_f16_e32 v84, v85, v84
	v_add_f16_e32 v85, v112, v163
	v_add_f16_e32 v81, v82, v81
	v_sub_f16_e32 v82, v162, v108
	;; [unrolled: 4-line block ×3, first 2 shown]
	v_add_f16_e32 v12, v12, v75
	v_add_f16_e32 v13, v13, v26
	v_mul_u32_u24_e32 v14, 0x4e, v43
	v_add_f16_e32 v201, v202, v201
	v_fma_f16 v202, v110, s7, v131
	v_add_f16_e32 v121, v126, v121
	v_fma_f16 v126, v120, s6, -v198
	v_add_f16_e32 v90, v94, v90
	v_add_f16_e32 v94, v128, v171
	;; [unrolled: 1-line block ×3, first 2 shown]
	v_sub_f16_e32 v92, v170, v125
	v_add_f16_e32 v84, v85, v84
	v_add_f16_e32 v85, v122, v169
	;; [unrolled: 1-line block ×3, first 2 shown]
	v_sub_f16_e32 v82, v168, v116
	v_add_f16_e32 v79, v80, v79
	v_add_f16_e32 v56, v77, v56
	;; [unrolled: 1-line block ×4, first 2 shown]
	v_add_u32_e32 v14, v14, v44
	v_add_f16_e32 v201, v202, v201
	v_fma_f16 v202, v120, s16, v133
	v_add_f16_e32 v121, v126, v121
	v_fma_f16 v126, v127, s16, -v199
	v_add_f16_e32 v90, v94, v90
	v_add_f16_e32 v86, v92, v86
	;; [unrolled: 1-line block ×4, first 2 shown]
	v_lshl_add_u32 v14, v14, 2, v42
	v_pack_b32_f16 v12, v12, v13
	v_pack_b32_f16 v13, v56, v79
	v_add_f16_e32 v201, v202, v201
	v_fma_f16 v202, v127, s17, v135
	v_add_f16_e32 v121, v126, v121
	ds_write2_b32 v14, v12, v13 offset1:6
	v_pack_b32_f16 v12, v81, v84
	v_pack_b32_f16 v13, v86, v90
	v_add_f16_e32 v201, v202, v201
	ds_write2_b32 v14, v12, v13 offset0:12 offset1:18
	v_pack_b32_f16 v12, v88, v93
	v_pack_b32_f16 v13, v121, v114
	ds_write2_b32 v14, v12, v13 offset0:24 offset1:30
	v_pack_b32_f16 v12, v113, v119
	v_pack_b32_f16 v13, v201, v200
	;; [unrolled: 3-line block ×3, first 2 shown]
	s_mov_b32 s6, 0x5040100
	ds_write2_b32 v14, v12, v13 offset0:48 offset1:54
	v_perm_b32 v12, v64, v63, s6
	v_perm_b32 v13, v62, v21, s6
	ds_write2_b32 v14, v12, v13 offset0:60 offset1:66
	v_perm_b32 v12, v61, v60, s6
	ds_write_b32 v14, v12 offset:288
.LBB0_9:
	s_or_b64 exec, exec, s[2:3]
	v_lshlrev_b32_e32 v28, 4, v40
	s_waitcnt lgkmcnt(0)
	s_barrier
	global_load_dwordx4 v[12:15], v28, s[14:15] offset:304
	v_add_u32_e32 v24, 0x400, v37
	ds_read2_b32 v[26:27], v37 offset1:78
	ds_read2_b32 v[55:56], v37 offset0:156 offset1:234
	v_add_u32_e32 v23, 0x600, v37
	v_add_u32_e32 v25, 0x800, v37
	ds_read2_b32 v[57:58], v24 offset0:56 offset1:134
	ds_read2_b32 v[65:66], v23 offset0:84 offset1:162
	;; [unrolled: 1-line block ×3, first 2 shown]
	s_movk_i32 s6, 0x3b9c
	s_waitcnt lgkmcnt(3)
	v_lshrrev_b32_e32 v70, 16, v55
	s_waitcnt lgkmcnt(2)
	v_lshrrev_b32_e32 v73, 16, v57
	;; [unrolled: 2-line block ×4, first 2 shown]
	s_mov_b32 s16, 0xbb9c
	s_movk_i32 s7, 0x38b4
	s_mov_b32 s17, 0xb8b4
	v_lshrrev_b32_e32 v69, 16, v26
	v_lshrrev_b32_e32 v72, 16, v56
	v_mov_b32_e32 v59, s15
	s_movk_i32 s15, 0x34f2
	v_lshrrev_b32_e32 v76, 16, v58
	v_lshrrev_b32_e32 v77, 16, v66
	;; [unrolled: 1-line block ×4, first 2 shown]
	s_waitcnt vmcnt(0)
	s_barrier
	v_add_co_u32_e64 v28, s[2:3], s14, v28
	v_addc_co_u32_e64 v59, s[2:3], 0, v59, s[2:3]
	v_lshl_add_u32 v50, v50, 2, v29
	v_mul_f16_sdwa v81, v73, v13 dst_sel:DWORD dst_unused:UNUSED_PAD src0_sel:DWORD src1_sel:WORD_1
	v_mul_f16_sdwa v83, v74, v14 dst_sel:DWORD dst_unused:UNUSED_PAD src0_sel:DWORD src1_sel:WORD_1
	;; [unrolled: 1-line block ×8, first 2 shown]
	v_fma_f16 v57, v57, v13, -v81
	v_fma_f16 v65, v65, v14, -v83
	;; [unrolled: 1-line block ×3, first 2 shown]
	v_fma_f16 v70, v70, v12, v80
	v_fma_f16 v67, v67, v15, -v85
	v_fma_f16 v75, v75, v15, v86
	v_add_f16_e32 v80, v57, v65
	v_fma_f16 v73, v73, v13, v82
	v_fma_f16 v74, v74, v14, v84
	v_sub_f16_e32 v81, v70, v75
	v_sub_f16_e32 v83, v55, v57
	v_sub_f16_e32 v84, v67, v65
	v_add_f16_e32 v85, v55, v67
	v_fma_f16 v80, v80, -0.5, v26
	v_add_f16_e32 v79, v26, v55
	v_sub_f16_e32 v82, v73, v74
	v_add_f16_e32 v83, v83, v84
	v_fma_f16 v26, v85, -0.5, v26
	v_fma_f16 v84, v81, s6, v80
	v_fma_f16 v80, v81, s16, v80
	v_mul_f16_sdwa v87, v72, v12 dst_sel:DWORD dst_unused:UNUSED_PAD src0_sel:DWORD src1_sel:WORD_1
	v_add_f16_e32 v79, v79, v57
	v_fma_f16 v85, v82, s16, v26
	v_fma_f16 v84, v82, s7, v84
	;; [unrolled: 1-line block ×4, first 2 shown]
	v_add_f16_e32 v82, v73, v74
	v_mul_f16_sdwa v88, v56, v12 dst_sel:DWORD dst_unused:UNUSED_PAD src0_sel:DWORD src1_sel:WORD_1
	v_fma_f16 v56, v56, v12, -v87
	v_sub_f16_e32 v86, v57, v55
	v_sub_f16_e32 v87, v65, v67
	v_add_f16_e32 v79, v79, v65
	v_fma_f16 v82, v82, -0.5, v69
	v_sub_f16_e32 v55, v55, v67
	v_add_f16_e32 v79, v79, v67
	v_fma_f16 v85, v81, s7, v85
	v_fma_f16 v84, v83, s15, v84
	;; [unrolled: 1-line block ×3, first 2 shown]
	v_add_f16_e32 v83, v86, v87
	v_fma_f16 v26, v81, s17, v26
	v_fma_f16 v67, v55, s16, v82
	v_sub_f16_e32 v57, v57, v65
	v_fma_f16 v85, v83, s15, v85
	v_fma_f16 v26, v83, s15, v26
	v_fma_f16 v65, v57, s17, v67
	v_sub_f16_e32 v67, v70, v73
	v_sub_f16_e32 v83, v75, v74
	v_fma_f16 v82, v55, s6, v82
	v_add_f16_e32 v67, v67, v83
	v_fma_f16 v82, v57, s7, v82
	v_fma_f16 v65, v67, s15, v65
	;; [unrolled: 1-line block ×3, first 2 shown]
	v_add_f16_e32 v82, v70, v75
	v_mul_f16_sdwa v89, v76, v13 dst_sel:DWORD dst_unused:UNUSED_PAD src0_sel:DWORD src1_sel:WORD_1
	v_mul_f16_sdwa v91, v77, v14 dst_sel:DWORD dst_unused:UNUSED_PAD src0_sel:DWORD src1_sel:WORD_1
	v_add_f16_e32 v81, v69, v70
	v_fma_f16 v69, v82, -0.5, v69
	v_mul_f16_sdwa v90, v58, v13 dst_sel:DWORD dst_unused:UNUSED_PAD src0_sel:DWORD src1_sel:WORD_1
	v_mul_f16_sdwa v92, v66, v14 dst_sel:DWORD dst_unused:UNUSED_PAD src0_sel:DWORD src1_sel:WORD_1
	;; [unrolled: 1-line block ×3, first 2 shown]
	v_fma_f16 v58, v58, v13, -v89
	v_fma_f16 v66, v66, v14, -v91
	v_add_f16_e32 v81, v81, v73
	v_fma_f16 v82, v57, s6, v69
	v_sub_f16_e32 v70, v73, v70
	v_sub_f16_e32 v73, v74, v75
	v_fma_f16 v57, v57, s16, v69
	v_mul_f16_sdwa v93, v78, v15 dst_sel:DWORD dst_unused:UNUSED_PAD src0_sel:DWORD src1_sel:WORD_1
	v_fma_f16 v72, v72, v12, v88
	v_fma_f16 v78, v78, v15, v94
	;; [unrolled: 1-line block ×3, first 2 shown]
	v_add_f16_e32 v70, v70, v73
	v_fma_f16 v55, v55, s7, v57
	v_add_f16_e32 v69, v58, v66
	v_fma_f16 v76, v76, v13, v90
	v_fma_f16 v77, v77, v14, v92
	v_fma_f16 v68, v68, v15, -v93
	v_add_f16_e32 v81, v81, v74
	v_fma_f16 v73, v70, s15, v82
	v_fma_f16 v55, v70, s15, v55
	v_fma_f16 v69, v69, -0.5, v27
	v_sub_f16_e32 v70, v72, v78
	v_add_f16_e32 v81, v81, v75
	v_fma_f16 v74, v70, s6, v69
	v_sub_f16_e32 v75, v76, v77
	v_sub_f16_e32 v82, v56, v58
	;; [unrolled: 1-line block ×3, first 2 shown]
	v_fma_f16 v69, v70, s16, v69
	v_fma_f16 v74, v75, s7, v74
	v_add_f16_e32 v82, v82, v83
	v_fma_f16 v69, v75, s17, v69
	v_fma_f16 v74, v82, s15, v74
	;; [unrolled: 1-line block ×3, first 2 shown]
	v_add_f16_e32 v82, v56, v68
	v_add_f16_e32 v57, v27, v56
	v_fma_f16 v27, v82, -0.5, v27
	v_add_f16_e32 v57, v57, v58
	v_fma_f16 v82, v75, s16, v27
	v_fma_f16 v27, v75, s6, v27
	v_add_f16_e32 v75, v76, v77
	v_add_f16_e32 v57, v57, v66
	v_sub_f16_e32 v83, v58, v56
	v_sub_f16_e32 v86, v66, v68
	v_fma_f16 v75, v75, -0.5, v71
	v_sub_f16_e32 v56, v56, v68
	v_add_f16_e32 v57, v57, v68
	v_fma_f16 v82, v70, s7, v82
	v_add_f16_e32 v83, v83, v86
	v_fma_f16 v27, v70, s17, v27
	v_fma_f16 v68, v56, s16, v75
	v_sub_f16_e32 v58, v58, v66
	v_fma_f16 v82, v83, s15, v82
	v_fma_f16 v27, v83, s15, v27
	;; [unrolled: 1-line block ×3, first 2 shown]
	v_sub_f16_e32 v68, v72, v76
	v_sub_f16_e32 v83, v78, v77
	v_fma_f16 v75, v56, s6, v75
	v_add_f16_e32 v68, v68, v83
	v_fma_f16 v75, v58, s7, v75
	v_fma_f16 v66, v68, s15, v66
	;; [unrolled: 1-line block ×3, first 2 shown]
	v_add_f16_e32 v75, v72, v78
	v_add_f16_e32 v70, v71, v72
	v_fma_f16 v71, v75, -0.5, v71
	v_add_f16_e32 v70, v70, v76
	v_fma_f16 v75, v58, s6, v71
	v_fma_f16 v58, v58, s16, v71
	v_add_f16_e32 v70, v70, v77
	v_fma_f16 v75, v56, s17, v75
	v_sub_f16_e32 v72, v76, v72
	v_sub_f16_e32 v76, v77, v78
	v_fma_f16 v56, v56, s7, v58
	v_pack_b32_f16 v58, v79, v81
	v_pack_b32_f16 v65, v84, v65
	v_add_f16_e32 v70, v70, v78
	v_add_f16_e32 v72, v72, v76
	ds_write2_b32 v37, v58, v65 offset1:78
	v_pack_b32_f16 v58, v85, v73
	v_pack_b32_f16 v26, v26, v55
	v_fma_f16 v75, v72, s15, v75
	ds_write2_b32 v37, v58, v26 offset0:156 offset1:234
	v_pack_b32_f16 v26, v80, v67
	v_pack_b32_f16 v55, v57, v70
	v_fma_f16 v56, v72, s15, v56
	ds_write2_b32 v24, v26, v55 offset0:56 offset1:134
	v_pack_b32_f16 v26, v74, v66
	v_pack_b32_f16 v55, v82, v75
	ds_write2_b32 v23, v26, v55 offset0:84 offset1:162
	v_pack_b32_f16 v26, v27, v56
	v_pack_b32_f16 v27, v69, v68
	ds_write2_b32 v25, v26, v27 offset0:112 offset1:190
	v_mul_i32_i24_e32 v26, -12, v40
	v_mul_hi_i32_i24_e32 v27, -12, v40
	v_add_co_u32_e64 v26, s[2:3], v28, v26
	v_addc_co_u32_e64 v27, s[2:3], v59, v27, s[2:3]
	s_waitcnt lgkmcnt(0)
	s_barrier
	global_load_dword v55, v[26:27], off offset:1552
	global_load_dword v56, v[26:27], off offset:1864
	;; [unrolled: 1-line block ×5, first 2 shown]
	ds_read2_b32 v[26:27], v37 offset1:78
	ds_read2_b32 v[65:66], v24 offset0:56 offset1:134
	ds_read2_b32 v[28:29], v23 offset0:84 offset1:162
	;; [unrolled: 1-line block ×4, first 2 shown]
	s_add_u32 s2, s12, 0xc30
	s_waitcnt lgkmcnt(4)
	v_lshrrev_b32_e32 v71, 16, v26
	s_waitcnt lgkmcnt(3)
	v_lshrrev_b32_e32 v72, 16, v66
	;; [unrolled: 2-line block ×3, first 2 shown]
	v_lshrrev_b32_e32 v76, 16, v29
	s_waitcnt lgkmcnt(0)
	v_lshrrev_b32_e32 v78, 16, v69
	v_lshrrev_b32_e32 v80, 16, v70
	;; [unrolled: 1-line block ×6, first 2 shown]
	s_addc_u32 s3, s13, 0
	s_waitcnt vmcnt(4)
	v_mul_f16_sdwa v81, v72, v55 dst_sel:DWORD dst_unused:UNUSED_PAD src0_sel:DWORD src1_sel:WORD_1
	v_fma_f16 v81, v66, v55, -v81
	v_mul_f16_sdwa v66, v66, v55 dst_sel:DWORD dst_unused:UNUSED_PAD src0_sel:DWORD src1_sel:WORD_1
	v_fma_f16 v66, v72, v55, v66
	s_waitcnt vmcnt(3)
	v_mul_f16_sdwa v72, v74, v56 dst_sel:DWORD dst_unused:UNUSED_PAD src0_sel:DWORD src1_sel:WORD_1
	v_fma_f16 v72, v28, v56, -v72
	v_mul_f16_sdwa v28, v28, v56 dst_sel:DWORD dst_unused:UNUSED_PAD src0_sel:DWORD src1_sel:WORD_1
	v_fma_f16 v28, v74, v56, v28
	;; [unrolled: 5-line block ×5, first 2 shown]
	v_sub_f16_e32 v80, v26, v81
	v_sub_f16_e32 v66, v71, v66
	;; [unrolled: 1-line block ×4, first 2 shown]
	v_fma_f16 v26, v26, 2.0, -v80
	v_fma_f16 v71, v71, 2.0, -v66
	;; [unrolled: 1-line block ×4, first 2 shown]
	v_sub_f16_e32 v74, v67, v74
	v_sub_f16_e32 v29, v75, v29
	;; [unrolled: 1-line block ×4, first 2 shown]
	v_pack_b32_f16 v26, v26, v71
	v_pack_b32_f16 v66, v80, v66
	;; [unrolled: 1-line block ×3, first 2 shown]
	v_fma_f16 v67, v67, 2.0, -v74
	v_fma_f16 v75, v75, 2.0, -v29
	;; [unrolled: 1-line block ×4, first 2 shown]
	ds_write_b32 v37, v66 offset:1560
	ds_write2_b32 v37, v26, v27 offset1:78
	v_pack_b32_f16 v26, v72, v28
	v_sub_f16_e32 v78, v65, v78
	v_sub_f16_e32 v70, v79, v70
	ds_write_b32 v37, v26 offset:1872
	v_pack_b32_f16 v26, v67, v75
	v_pack_b32_f16 v28, v68, v77
	v_fma_f16 v65, v65, 2.0, -v78
	v_fma_f16 v79, v79, 2.0, -v70
	v_pack_b32_f16 v27, v74, v29
	ds_write2_b32 v37, v26, v28 offset0:156 offset1:234
	v_pack_b32_f16 v26, v76, v69
	v_add_u32_e32 v28, 0x800, v50
	ds_write2_b32 v28, v27, v26 offset0:34 offset1:112
	v_pack_b32_f16 v26, v65, v79
	ds_write_b32 v37, v26 offset:1248
	v_pack_b32_f16 v26, v78, v70
	ds_write_b32 v50, v26 offset:2808
	s_waitcnt lgkmcnt(0)
	s_barrier
	global_load_dword v28, v[19:20], off offset:3120
	v_lshlrev_b32_e32 v19, 2, v40
	global_load_dword v29, v19, s[2:3] offset:1560
	global_load_dword v65, v19, s[2:3] offset:312
	;; [unrolled: 1-line block ×9, first 2 shown]
	ds_read2_b32 v[19:20], v37 offset1:78
	ds_read2_b32 v[26:27], v24 offset0:56 offset1:134
	s_waitcnt lgkmcnt(1)
	v_lshrrev_b32_e32 v73, 16, v19
	s_waitcnt vmcnt(9)
	v_mul_f16_sdwa v74, v73, v28 dst_sel:DWORD dst_unused:UNUSED_PAD src0_sel:DWORD src1_sel:WORD_1
	v_fma_f16 v74, v19, v28, -v74
	v_mul_f16_sdwa v19, v19, v28 dst_sel:DWORD dst_unused:UNUSED_PAD src0_sel:DWORD src1_sel:WORD_1
	v_fma_f16 v19, v73, v28, v19
	s_waitcnt lgkmcnt(0)
	v_lshrrev_b32_e32 v28, 16, v27
	s_waitcnt vmcnt(8)
	v_mul_f16_sdwa v73, v28, v29 dst_sel:DWORD dst_unused:UNUSED_PAD src0_sel:DWORD src1_sel:WORD_1
	v_fma_f16 v73, v27, v29, -v73
	v_mul_f16_sdwa v27, v27, v29 dst_sel:DWORD dst_unused:UNUSED_PAD src0_sel:DWORD src1_sel:WORD_1
	v_fma_f16 v27, v28, v29, v27
	v_pack_b32_f16 v29, v73, v27
	v_lshrrev_b32_e32 v73, 16, v20
	s_waitcnt vmcnt(7)
	v_mul_f16_sdwa v27, v73, v65 dst_sel:DWORD dst_unused:UNUSED_PAD src0_sel:DWORD src1_sel:WORD_1
	v_pack_b32_f16 v19, v74, v19
	v_fma_f16 v74, v20, v65, -v27
	ds_read2_b32 v[27:28], v23 offset0:84 offset1:162
	v_mul_f16_sdwa v20, v20, v65 dst_sel:DWORD dst_unused:UNUSED_PAD src0_sel:DWORD src1_sel:WORD_1
	v_fma_f16 v20, v73, v65, v20
	v_pack_b32_f16 v20, v74, v20
	ds_write2_b32 v37, v19, v20 offset1:78
	ds_read2_b32 v[19:20], v37 offset0:156 offset1:234
	s_waitcnt lgkmcnt(2)
	v_lshrrev_b32_e32 v65, 16, v27
	s_waitcnt vmcnt(6)
	v_mul_f16_sdwa v73, v65, v66 dst_sel:DWORD dst_unused:UNUSED_PAD src0_sel:DWORD src1_sel:WORD_1
	v_fma_f16 v73, v27, v66, -v73
	v_mul_f16_sdwa v27, v27, v66 dst_sel:DWORD dst_unused:UNUSED_PAD src0_sel:DWORD src1_sel:WORD_1
	v_fma_f16 v27, v65, v66, v27
	s_waitcnt lgkmcnt(0)
	v_lshrrev_b32_e32 v65, 16, v19
	s_waitcnt vmcnt(5)
	v_mul_f16_sdwa v66, v65, v67 dst_sel:DWORD dst_unused:UNUSED_PAD src0_sel:DWORD src1_sel:WORD_1
	v_fma_f16 v66, v19, v67, -v66
	v_mul_f16_sdwa v19, v19, v67 dst_sel:DWORD dst_unused:UNUSED_PAD src0_sel:DWORD src1_sel:WORD_1
	v_fma_f16 v19, v65, v67, v19
	v_lshrrev_b32_e32 v65, 16, v28
	v_pack_b32_f16 v19, v66, v19
	s_waitcnt vmcnt(4)
	v_mul_f16_sdwa v66, v65, v68 dst_sel:DWORD dst_unused:UNUSED_PAD src0_sel:DWORD src1_sel:WORD_1
	v_fma_f16 v66, v28, v68, -v66
	v_mul_f16_sdwa v28, v28, v68 dst_sel:DWORD dst_unused:UNUSED_PAD src0_sel:DWORD src1_sel:WORD_1
	v_fma_f16 v28, v65, v68, v28
	v_pack_b32_f16 v27, v73, v27
	v_pack_b32_f16 v28, v66, v28
	v_lshrrev_b32_e32 v65, 16, v20
	ds_write2_b32 v23, v27, v28 offset0:84 offset1:162
	s_waitcnt vmcnt(3)
	v_mul_f16_sdwa v27, v65, v69 dst_sel:DWORD dst_unused:UNUSED_PAD src0_sel:DWORD src1_sel:WORD_1
	v_fma_f16 v66, v20, v69, -v27
	ds_read2_b32 v[27:28], v25 offset0:112 offset1:190
	v_mul_f16_sdwa v20, v20, v69 dst_sel:DWORD dst_unused:UNUSED_PAD src0_sel:DWORD src1_sel:WORD_1
	v_fma_f16 v20, v65, v69, v20
	v_pack_b32_f16 v20, v66, v20
	ds_write2_b32 v37, v19, v20 offset0:156 offset1:234
	s_waitcnt lgkmcnt(1)
	v_lshrrev_b32_e32 v19, 16, v27
	s_waitcnt vmcnt(2)
	v_mul_f16_sdwa v20, v19, v70 dst_sel:DWORD dst_unused:UNUSED_PAD src0_sel:DWORD src1_sel:WORD_1
	v_fma_f16 v20, v27, v70, -v20
	v_mul_f16_sdwa v27, v27, v70 dst_sel:DWORD dst_unused:UNUSED_PAD src0_sel:DWORD src1_sel:WORD_1
	v_fma_f16 v19, v19, v70, v27
	v_pack_b32_f16 v19, v20, v19
	v_lshrrev_b32_e32 v20, 16, v26
	s_waitcnt vmcnt(1)
	v_mul_f16_sdwa v27, v20, v71 dst_sel:DWORD dst_unused:UNUSED_PAD src0_sel:DWORD src1_sel:WORD_1
	v_fma_f16 v27, v26, v71, -v27
	v_mul_f16_sdwa v26, v26, v71 dst_sel:DWORD dst_unused:UNUSED_PAD src0_sel:DWORD src1_sel:WORD_1
	v_fma_f16 v20, v20, v71, v26
	v_pack_b32_f16 v20, v27, v20
	ds_write2_b32 v24, v20, v29 offset0:56 offset1:134
	v_lshrrev_b32_e32 v20, 16, v28
	s_waitcnt vmcnt(0)
	v_mul_f16_sdwa v26, v20, v72 dst_sel:DWORD dst_unused:UNUSED_PAD src0_sel:DWORD src1_sel:WORD_1
	v_mul_f16_sdwa v27, v28, v72 dst_sel:DWORD dst_unused:UNUSED_PAD src0_sel:DWORD src1_sel:WORD_1
	v_fma_f16 v26, v28, v72, -v26
	v_fma_f16 v20, v20, v72, v27
	v_pack_b32_f16 v20, v26, v20
	ds_write2_b32 v25, v19, v20 offset0:112 offset1:190
	s_waitcnt lgkmcnt(0)
	s_barrier
	ds_read2_b32 v[19:20], v24 offset0:56 offset1:134
	ds_read2_b32 v[26:27], v25 offset0:112 offset1:190
	ds_read2_b32 v[65:66], v37 offset1:78
	ds_read2_b32 v[67:68], v23 offset0:84 offset1:162
	ds_read2_b32 v[69:70], v37 offset0:156 offset1:234
	s_waitcnt lgkmcnt(0)
	v_pk_add_f16 v29, v19, v27 neg_lo:[0,1] neg_hi:[0,1]
	v_pk_add_f16 v71, v65, v20 neg_lo:[0,1] neg_hi:[0,1]
	;; [unrolled: 1-line block ×4, first 2 shown]
	v_pk_fma_f16 v27, v66, 2.0, v28 op_sel_hi:[1,0,1] neg_lo:[0,0,1] neg_hi:[0,0,1]
	v_pk_fma_f16 v66, v69, 2.0, v67 op_sel_hi:[1,0,1] neg_lo:[0,0,1] neg_hi:[0,0,1]
	v_pk_add_f16 v69, v70, v26 neg_lo:[0,1] neg_hi:[0,1]
	v_pk_fma_f16 v68, v70, 2.0, v69 op_sel_hi:[1,0,1] neg_lo:[0,0,1] neg_hi:[0,0,1]
	v_pk_fma_f16 v70, v65, 2.0, v71 op_sel_hi:[1,0,1] neg_lo:[0,0,1] neg_hi:[0,0,1]
	s_barrier
	ds_write_b64 v46, v[70:71]
	ds_write_b64 v47, v[27:28]
	;; [unrolled: 1-line block ×4, first 2 shown]
	v_pk_fma_f16 v28, v19, 2.0, v29 op_sel_hi:[1,0,1] neg_lo:[0,0,1] neg_hi:[0,0,1]
	ds_write_b64 v22, v[28:29]
	v_add_u32_e32 v22, 0x200, v37
	s_waitcnt lgkmcnt(0)
	s_barrier
	ds_read2_b32 v[19:20], v37 offset1:78
	ds_read2_b32 v[22:23], v22 offset0:28 offset1:132
	ds_read2_b32 v[26:27], v25 offset0:8 offset1:86
	;; [unrolled: 1-line block ×3, first 2 shown]
	ds_read_b32 v28, v37 offset:2704
	s_and_saveexec_b64 s[2:3], vcc
	s_cbranch_execz .LBB0_11
; %bb.10:
	ds_read_b32 v63, v37 offset:1976
	ds_read_b32 v21, v37 offset:3016
	ds_read_b32 v29, v37 offset:936
	s_waitcnt lgkmcnt(2)
	v_lshrrev_b32_e32 v64, 16, v63
	s_waitcnt lgkmcnt(1)
	v_lshrrev_b32_e32 v62, 16, v21
.LBB0_11:
	s_or_b64 exec, exec, s[2:3]
	s_waitcnt lgkmcnt(3)
	v_lshrrev_b32_e32 v47, 16, v23
	v_mul_f16_sdwa v70, v17, v47 dst_sel:DWORD dst_unused:UNUSED_PAD src0_sel:WORD_1 src1_sel:DWORD
	s_waitcnt lgkmcnt(2)
	v_lshrrev_b32_e32 v48, 16, v26
	v_fma_f16 v70, v17, v23, v70
	v_mul_f16_sdwa v23, v17, v23 dst_sel:DWORD dst_unused:UNUSED_PAD src0_sel:WORD_1 src1_sel:DWORD
	v_fma_f16 v71, v17, v47, -v23
	v_mul_f16_sdwa v23, v18, v48 dst_sel:DWORD dst_unused:UNUSED_PAD src0_sel:WORD_1 src1_sel:DWORD
	s_waitcnt lgkmcnt(1)
	v_lshrrev_b32_e32 v65, 16, v24
	v_fma_f16 v72, v18, v26, v23
	v_mul_f16_sdwa v23, v18, v26 dst_sel:DWORD dst_unused:UNUSED_PAD src0_sel:WORD_1 src1_sel:DWORD
	v_fma_f16 v26, v18, v48, -v23
	v_mul_f16_sdwa v23, v17, v65 dst_sel:DWORD dst_unused:UNUSED_PAD src0_sel:WORD_1 src1_sel:DWORD
	v_lshrrev_b32_e32 v66, 16, v27
	v_fma_f16 v48, v17, v24, v23
	v_mul_f16_sdwa v23, v17, v24 dst_sel:DWORD dst_unused:UNUSED_PAD src0_sel:WORD_1 src1_sel:DWORD
	v_fma_f16 v73, v17, v65, -v23
	v_mul_f16_sdwa v23, v18, v66 dst_sel:DWORD dst_unused:UNUSED_PAD src0_sel:WORD_1 src1_sel:DWORD
	;; [unrolled: 5-line block ×3, first 2 shown]
	s_waitcnt lgkmcnt(0)
	v_lshrrev_b32_e32 v69, 16, v28
	v_fma_f16 v75, v17, v25, v23
	v_mul_f16_sdwa v23, v17, v25 dst_sel:DWORD dst_unused:UNUSED_PAD src0_sel:WORD_1 src1_sel:DWORD
	v_fma_f16 v68, v17, v68, -v23
	v_mul_f16_sdwa v23, v18, v69 dst_sel:DWORD dst_unused:UNUSED_PAD src0_sel:WORD_1 src1_sel:DWORD
	v_fma_f16 v76, v18, v28, v23
	v_mul_f16_sdwa v23, v18, v28 dst_sel:DWORD dst_unused:UNUSED_PAD src0_sel:WORD_1 src1_sel:DWORD
	v_fma_f16 v28, v18, v69, -v23
	v_mul_f16_sdwa v23, v17, v64 dst_sel:DWORD dst_unused:UNUSED_PAD src0_sel:WORD_1 src1_sel:DWORD
	;; [unrolled: 4-line block ×3, first 2 shown]
	v_fma_f16 v78, v18, v21, v17
	v_mul_f16_sdwa v17, v18, v21 dst_sel:DWORD dst_unused:UNUSED_PAD src0_sel:WORD_1 src1_sel:DWORD
	v_fma_f16 v79, v18, v62, -v17
	v_add_f16_e32 v18, v70, v72
	v_lshrrev_b32_e32 v46, 16, v19
	v_add_f16_e32 v17, v19, v70
	v_fma_f16 v19, v18, -0.5, v19
	v_sub_f16_e32 v21, v71, v26
	s_mov_b32 s2, 0xbaee
	s_movk_i32 s3, 0x3aee
	v_fma_f16 v18, v21, s2, v19
	v_fma_f16 v23, v21, s3, v19
	v_add_f16_e32 v19, v46, v71
	v_add_f16_e32 v47, v19, v26
	;; [unrolled: 1-line block ×3, first 2 shown]
	v_fma_f16 v19, v19, -0.5, v46
	v_sub_f16_e32 v21, v70, v72
	v_fma_f16 v66, v21, s3, v19
	v_fma_f16 v65, v21, s2, v19
	v_add_f16_e32 v19, v20, v48
	v_add_f16_e32 v24, v19, v74
	;; [unrolled: 1-line block ×3, first 2 shown]
	v_lshrrev_b32_e32 v49, 16, v20
	v_fma_f16 v20, v19, -0.5, v20
	v_sub_f16_e32 v21, v73, v27
	v_fma_f16 v19, v21, s2, v20
	v_fma_f16 v20, v21, s3, v20
	v_add_f16_e32 v21, v49, v73
	v_add_f16_e32 v64, v21, v27
	;; [unrolled: 1-line block ×3, first 2 shown]
	v_fma_f16 v21, v21, -0.5, v49
	v_sub_f16_e32 v25, v48, v74
	v_fma_f16 v62, v25, s3, v21
	v_fma_f16 v49, v25, s2, v21
	v_add_f16_e32 v25, v75, v76
	v_lshrrev_b32_e32 v67, 16, v22
	v_fma_f16 v25, v25, -0.5, v22
	v_sub_f16_e32 v26, v68, v28
	v_add_f16_e32 v21, v22, v75
	v_fma_f16 v22, v26, s2, v25
	v_fma_f16 v25, v26, s3, v25
	v_add_f16_e32 v26, v67, v68
	v_add_f16_e32 v48, v26, v28
	;; [unrolled: 1-line block ×3, first 2 shown]
	v_fma_f16 v26, v26, -0.5, v67
	v_sub_f16_e32 v27, v75, v76
	v_fma_f16 v63, v27, s3, v26
	v_fma_f16 v67, v27, s2, v26
	v_add_f16_e32 v27, v69, v78
	v_add_f16_e32 v26, v69, v29
	v_fma_f16 v28, v27, -0.5, v29
	v_sub_f16_e32 v46, v77, v79
	v_lshrrev_b32_e32 v29, 16, v29
	v_fma_f16 v27, v46, s2, v28
	v_fma_f16 v28, v46, s3, v28
	v_add_f16_e32 v46, v77, v29
	v_add_f16_e32 v68, v79, v46
	;; [unrolled: 1-line block ×4, first 2 shown]
	v_fma_f16 v29, v46, -0.5, v29
	v_sub_f16_e32 v46, v69, v78
	v_fma_f16 v69, v46, s3, v29
	v_fma_f16 v70, v46, s2, v29
	v_pack_b32_f16 v29, v17, v47
	v_pack_b32_f16 v46, v18, v66
	s_barrier
	ds_write2_b32 v51, v29, v46 offset1:2
	v_pack_b32_f16 v29, v23, v65
	ds_write_b32 v51, v29 offset:16
	v_pack_b32_f16 v29, v24, v64
	v_pack_b32_f16 v46, v19, v62
	v_add_f16_e32 v21, v21, v76
	ds_write2_b32 v52, v29, v46 offset1:2
	v_pack_b32_f16 v29, v20, v49
	ds_write_b32 v52, v29 offset:16
	v_pack_b32_f16 v29, v21, v48
	v_pack_b32_f16 v46, v22, v63
	v_add_f16_e32 v26, v26, v78
	ds_write2_b32 v54, v29, v46 offset1:2
	v_pack_b32_f16 v29, v25, v67
	ds_write_b32 v54, v29 offset:16
	s_and_saveexec_b64 s[2:3], vcc
	s_cbranch_execz .LBB0_13
; %bb.12:
	v_mul_u32_u24_e32 v29, 6, v53
	v_or_b32_e32 v29, v29, v45
	s_mov_b32 s6, 0x5040100
	v_lshl_add_u32 v29, v29, 2, v42
	v_perm_b32 v45, v68, v26, s6
	v_perm_b32 v46, v69, v27, s6
	ds_write2_b32 v29, v45, v46 offset1:2
	v_perm_b32 v45, v70, v28, s6
	ds_write_b32 v29, v45 offset:16
.LBB0_13:
	s_or_b64 exec, exec, s[2:3]
	s_waitcnt lgkmcnt(0)
	s_barrier
	s_and_saveexec_b64 s[2:3], s[0:1]
	s_cbranch_execz .LBB0_15
; %bb.14:
	v_add_u32_e32 v19, 0x200, v37
	v_add_u32_e32 v21, 0x400, v37
	;; [unrolled: 1-line block ×4, first 2 shown]
	ds_read2_b32 v[17:18], v37 offset1:60
	ds_read2_b32 v[23:24], v37 offset0:120 offset1:180
	ds_read2_b32 v[19:20], v19 offset0:112 offset1:172
	;; [unrolled: 1-line block ×5, first 2 shown]
	ds_read_b32 v60, v37 offset:2880
	s_waitcnt lgkmcnt(6)
	v_lshrrev_b32_e32 v47, 16, v17
	v_lshrrev_b32_e32 v66, 16, v18
	s_waitcnt lgkmcnt(5)
	v_lshrrev_b32_e32 v65, 16, v23
	v_lshrrev_b32_e32 v64, 16, v24
	;; [unrolled: 3-line block ×6, first 2 shown]
	s_waitcnt lgkmcnt(0)
	v_lshrrev_b32_e32 v61, 16, v60
.LBB0_15:
	s_or_b64 exec, exec, s[2:3]
	v_add_u32_e32 v46, 0x270, v50
	v_add_u32_e32 v45, 0x3a8, v50
	;; [unrolled: 1-line block ×3, first 2 shown]
	s_barrier
	s_and_saveexec_b64 s[2:3], s[0:1]
	s_cbranch_execz .LBB0_17
; %bb.16:
	v_mul_f16_sdwa v50, v4, v66 dst_sel:DWORD dst_unused:UNUSED_PAD src0_sel:WORD_1 src1_sel:DWORD
	v_mul_f16_sdwa v51, v11, v61 dst_sel:DWORD dst_unused:UNUSED_PAD src0_sel:WORD_1 src1_sel:DWORD
	v_mul_f16_sdwa v54, v11, v60 dst_sel:DWORD dst_unused:UNUSED_PAD src0_sel:WORD_1 src1_sel:DWORD
	v_fma_f16 v50, v4, v18, v50
	v_fma_f16 v51, v11, v60, v51
	v_fma_f16 v11, v11, v61, -v54
	v_mul_f16_sdwa v18, v4, v18 dst_sel:DWORD dst_unused:UNUSED_PAD src0_sel:WORD_1 src1_sel:DWORD
	v_mul_f16_sdwa v60, v5, v65 dst_sel:DWORD dst_unused:UNUSED_PAD src0_sel:WORD_1 src1_sel:DWORD
	;; [unrolled: 1-line block ×3, first 2 shown]
	v_sub_f16_e32 v52, v50, v51
	v_fma_f16 v4, v4, v66, -v18
	v_fma_f16 v60, v5, v23, v60
	v_fma_f16 v61, v10, v28, v61
	v_mul_f16_sdwa v28, v10, v28 dst_sel:DWORD dst_unused:UNUSED_PAD src0_sel:WORD_1 src1_sel:DWORD
	v_mul_f16_sdwa v23, v5, v23 dst_sel:DWORD dst_unused:UNUSED_PAD src0_sel:WORD_1 src1_sel:DWORD
	v_mul_f16_e32 v53, 0xbb7b, v52
	v_add_f16_e32 v18, v11, v4
	s_mov_b32 s0, 0xb5ac
	v_sub_f16_e32 v66, v60, v61
	v_fma_f16 v10, v10, v70, -v28
	v_fma_f16 v5, v5, v65, -v23
	v_fma_f16 v54, v18, s0, v53
	v_mul_f16_e32 v71, 0x394e, v66
	v_add_f16_e32 v23, v10, v5
	s_mov_b32 s6, 0xb9fd
	v_add_f16_e32 v54, v47, v54
	v_fma_f16 v28, v23, s6, v71
	v_add_f16_e32 v28, v28, v54
	v_mul_f16_sdwa v54, v6, v64 dst_sel:DWORD dst_unused:UNUSED_PAD src0_sel:WORD_1 src1_sel:DWORD
	v_mul_f16_sdwa v65, v9, v69 dst_sel:DWORD dst_unused:UNUSED_PAD src0_sel:WORD_1 src1_sel:DWORD
	v_fma_f16 v54, v6, v24, v54
	v_fma_f16 v65, v9, v27, v65
	v_mul_f16_sdwa v27, v9, v27 dst_sel:DWORD dst_unused:UNUSED_PAD src0_sel:WORD_1 src1_sel:DWORD
	v_mul_f16_sdwa v24, v6, v24 dst_sel:DWORD dst_unused:UNUSED_PAD src0_sel:WORD_1 src1_sel:DWORD
	v_sub_f16_e32 v70, v54, v65
	v_fma_f16 v9, v9, v69, -v27
	v_fma_f16 v6, v6, v64, -v24
	v_mul_f16_e32 v72, 0x3770, v70
	v_add_f16_e32 v24, v9, v6
	s_movk_i32 s7, 0x3b15
	v_fma_f16 v27, v24, s7, v72
	v_add_f16_e32 v27, v27, v28
	v_mul_f16_sdwa v28, v7, v62 dst_sel:DWORD dst_unused:UNUSED_PAD src0_sel:WORD_1 src1_sel:DWORD
	v_mul_f16_sdwa v64, v8, v68 dst_sel:DWORD dst_unused:UNUSED_PAD src0_sel:WORD_1 src1_sel:DWORD
	v_fma_f16 v28, v7, v19, v28
	v_fma_f16 v64, v8, v26, v64
	v_mul_f16_sdwa v26, v8, v26 dst_sel:DWORD dst_unused:UNUSED_PAD src0_sel:WORD_1 src1_sel:DWORD
	v_mul_f16_sdwa v19, v7, v19 dst_sel:DWORD dst_unused:UNUSED_PAD src0_sel:WORD_1 src1_sel:DWORD
	v_sub_f16_e32 v69, v28, v64
	v_fma_f16 v8, v8, v68, -v26
	v_fma_f16 v7, v7, v62, -v19
	v_mul_f16_e32 v73, 0xbbf1, v69
	v_add_f16_e32 v19, v8, v7
	s_movk_i32 s13, 0x2fb7
	v_fma_f16 v26, v19, s13, v73
	v_add_f16_e32 v26, v26, v27
	v_mul_f16_sdwa v27, v0, v49 dst_sel:DWORD dst_unused:UNUSED_PAD src0_sel:WORD_1 src1_sel:DWORD
	v_mul_f16_sdwa v62, v3, v67 dst_sel:DWORD dst_unused:UNUSED_PAD src0_sel:WORD_1 src1_sel:DWORD
	v_fma_f16 v27, v0, v20, v27
	v_fma_f16 v62, v3, v25, v62
	v_mul_f16_sdwa v25, v3, v25 dst_sel:DWORD dst_unused:UNUSED_PAD src0_sel:WORD_1 src1_sel:DWORD
	v_mul_f16_sdwa v20, v0, v20 dst_sel:DWORD dst_unused:UNUSED_PAD src0_sel:WORD_1 src1_sel:DWORD
	v_sub_f16_e32 v68, v27, v62
	v_fma_f16 v3, v3, v67, -v25
	v_fma_f16 v0, v0, v49, -v20
	v_mul_f16_e32 v74, 0x33a8, v68
	v_add_f16_e32 v20, v3, v0
	s_mov_b32 s16, 0xbbc4
	v_fma_f16 v25, v20, s16, v74
	v_add_f16_e32 v25, v25, v26
	v_mul_f16_sdwa v26, v1, v48 dst_sel:DWORD dst_unused:UNUSED_PAD src0_sel:WORD_1 src1_sel:DWORD
	v_mul_f16_sdwa v49, v2, v63 dst_sel:DWORD dst_unused:UNUSED_PAD src0_sel:WORD_1 src1_sel:DWORD
	v_fma_f16 v26, v1, v21, v26
	v_fma_f16 v49, v2, v22, v49
	v_mul_f16_sdwa v22, v2, v22 dst_sel:DWORD dst_unused:UNUSED_PAD src0_sel:WORD_1 src1_sel:DWORD
	v_mul_f16_sdwa v21, v1, v21 dst_sel:DWORD dst_unused:UNUSED_PAD src0_sel:WORD_1 src1_sel:DWORD
	v_sub_f16_e32 v67, v26, v49
	v_fma_f16 v2, v2, v63, -v22
	v_fma_f16 v1, v1, v48, -v21
	v_mul_f16_e32 v75, 0x3a95, v67
	v_add_f16_e32 v21, v2, v1
	s_movk_i32 s17, 0x388b
	v_fma_f16 v22, v21, s17, v75
	v_sub_f16_e32 v48, v4, v11
	v_add_f16_e32 v22, v22, v25
	v_add_f16_e32 v25, v51, v50
	v_mul_f16_e32 v63, 0xbb7b, v48
	v_sub_f16_e32 v78, v5, v10
	v_fma_f16 v76, v25, s0, -v63
	v_add_f16_e32 v77, v61, v60
	v_mul_f16_e32 v79, 0x394e, v78
	v_add_f16_e32 v76, v17, v76
	v_fma_f16 v80, v77, s6, -v79
	v_sub_f16_e32 v81, v6, v9
	v_add_f16_e32 v76, v80, v76
	v_add_f16_e32 v80, v65, v54
	v_mul_f16_e32 v82, 0x3770, v81
	v_fma_f16 v83, v80, s7, -v82
	v_sub_f16_e32 v84, v7, v8
	v_add_f16_e32 v76, v83, v76
	v_add_f16_e32 v83, v64, v28
	v_mul_f16_e32 v85, 0xbbf1, v84
	;; [unrolled: 5-line block ×4, first 2 shown]
	v_fma_f16 v92, v89, s17, -v91
	v_add_f16_e32 v76, v92, v76
	v_mul_f16_e32 v92, 0xb94e, v52
	v_fma_f16 v93, v18, s6, v92
	v_mul_f16_e32 v94, 0x3bf1, v66
	v_add_f16_e32 v93, v47, v93
	v_fma_f16 v95, v23, s13, v94
	v_add_f16_e32 v93, v95, v93
	v_mul_f16_e32 v95, 0xba95, v70
	v_fma_f16 v53, v18, s0, -v53
	v_fma_f16 v96, v24, s17, v95
	v_add_f16_e32 v53, v47, v53
	v_fma_f16 v71, v23, s6, -v71
	v_add_f16_e32 v93, v96, v93
	v_mul_f16_e32 v96, 0x33a8, v69
	v_add_f16_e32 v53, v71, v53
	v_fma_f16 v71, v24, s7, -v72
	v_fma_f16 v97, v19, s16, v96
	v_add_f16_e32 v53, v71, v53
	v_fma_f16 v71, v19, s13, -v73
	v_add_f16_e32 v93, v97, v93
	v_mul_f16_e32 v97, 0x3770, v68
	v_add_f16_e32 v53, v71, v53
	v_fma_f16 v71, v20, s16, -v74
	v_fma_f16 v98, v20, s7, v97
	v_add_f16_e32 v53, v71, v53
	v_fma_f16 v71, v21, s17, -v75
	v_fma_f16 v63, v25, s0, v63
	v_add_f16_e32 v93, v98, v93
	v_mul_f16_e32 v98, 0xbb7b, v67
	v_add_f16_e32 v53, v71, v53
	v_add_f16_e32 v63, v17, v63
	v_fma_f16 v71, v77, s6, v79
	v_fma_f16 v99, v21, s0, v98
	v_add_f16_e32 v63, v71, v63
	v_fma_f16 v71, v80, s7, v82
	v_add_f16_e32 v93, v99, v93
	v_mul_f16_e32 v99, 0xb94e, v48
	v_add_f16_e32 v63, v71, v63
	v_fma_f16 v71, v83, s13, v85
	v_fma_f16 v100, v25, s6, -v99
	v_mul_f16_e32 v101, 0x3bf1, v78
	v_add_f16_e32 v63, v71, v63
	v_fma_f16 v71, v86, s16, v88
	v_add_f16_e32 v100, v17, v100
	v_fma_f16 v102, v77, s13, -v101
	v_add_f16_e32 v63, v71, v63
	v_fma_f16 v71, v89, s17, v91
	s_movk_i32 s20, 0x3bf1
	v_add_f16_e32 v100, v102, v100
	v_mul_f16_e32 v102, 0xba95, v81
	v_add_f16_e32 v63, v71, v63
	v_mul_f16_e32 v71, 0x2fb7, v18
	s_movk_i32 s22, 0x33a8
	v_fma_f16 v103, v80, s17, -v102
	v_fma_f16 v92, v18, s6, -v92
	v_fma_f16 v72, v52, s20, v71
	v_mul_f16_e32 v73, 0xbbc4, v23
	v_add_f16_e32 v100, v103, v100
	v_mul_f16_e32 v103, 0x33a8, v84
	v_add_f16_e32 v92, v47, v92
	v_fma_f16 v94, v23, s13, -v94
	v_add_f16_e32 v72, v47, v72
	v_fma_f16 v74, v66, s22, v73
	s_mov_b32 s1, 0xbb7b
	v_fma_f16 v104, v83, s16, -v103
	v_add_f16_e32 v92, v94, v92
	v_fma_f16 v94, v24, s17, -v95
	v_add_f16_e32 v72, v74, v72
	v_mul_f16_e32 v74, 0xb5ac, v24
	v_add_f16_e32 v100, v104, v100
	v_mul_f16_e32 v104, 0x3770, v87
	v_add_f16_e32 v92, v94, v92
	v_fma_f16 v94, v19, s16, -v96
	v_fma_f16 v75, v70, s1, v74
	v_fma_f16 v105, v86, s7, -v104
	v_add_f16_e32 v92, v94, v92
	v_fma_f16 v94, v20, s7, -v97
	v_add_f16_e32 v72, v75, v72
	v_mul_f16_e32 v75, 0x3b15, v19
	s_mov_b32 s24, 0xb770
	v_add_f16_e32 v100, v105, v100
	v_mul_f16_e32 v105, 0xbb7b, v90
	v_add_f16_e32 v92, v94, v92
	v_fma_f16 v94, v21, s0, -v98
	v_fma_f16 v79, v69, s24, v75
	s_movk_i32 s23, 0x3a95
	v_fma_f16 v106, v89, s0, -v105
	v_add_f16_e32 v92, v94, v92
	v_fma_f16 v94, v25, s6, v99
	v_add_f16_e32 v72, v79, v72
	v_mul_f16_e32 v79, 0x388b, v20
	v_add_f16_e32 v100, v106, v100
	v_mul_f16_e32 v106, 0xb3a8, v52
	v_add_f16_e32 v94, v17, v94
	v_fma_f16 v95, v77, s13, v101
	v_fma_f16 v82, v68, s23, v79
	s_movk_i32 s12, 0x394e
	v_fma_f16 v107, v18, s16, v106
	v_mul_f16_e32 v108, 0x3770, v66
	v_add_f16_e32 v94, v95, v94
	v_fma_f16 v95, v80, s17, v102
	v_add_f16_e32 v72, v82, v72
	v_mul_f16_e32 v82, 0xb9fd, v21
	v_add_f16_e32 v107, v47, v107
	v_fma_f16 v109, v23, s7, v108
	v_add_f16_e32 v94, v95, v94
	v_fma_f16 v95, v83, s16, v103
	v_fma_f16 v85, v67, s12, v82
	v_add_f16_e32 v107, v109, v107
	v_mul_f16_e32 v109, 0xb94e, v70
	v_add_f16_e32 v94, v95, v94
	v_fma_f16 v95, v86, s7, v104
	v_add_f16_e32 v72, v85, v72
	v_mul_f16_e32 v85, 0xbbf1, v48
	v_fma_f16 v110, v24, s6, v109
	v_add_f16_e32 v94, v95, v94
	v_fma_f16 v95, v89, s0, v105
	v_fma_f16 v88, v25, s13, v85
	v_mul_f16_e32 v91, 0xb3a8, v78
	v_add_f16_e32 v107, v110, v107
	v_mul_f16_e32 v110, 0x3a95, v69
	v_add_f16_e32 v94, v95, v94
	v_add_f16_e32 v88, v17, v88
	v_fma_f16 v95, v77, s16, v91
	v_fma_f16 v111, v19, s17, v110
	v_add_f16_e32 v88, v95, v88
	v_mul_f16_e32 v95, 0x3b7b, v81
	v_add_f16_e32 v107, v111, v107
	v_mul_f16_e32 v111, 0xbb7b, v68
	v_fma_f16 v96, v80, s0, v95
	v_add_f16_e32 v4, v4, v47
	v_fma_f16 v112, v20, s0, v111
	v_add_f16_e32 v88, v96, v88
	v_mul_f16_e32 v96, 0x3770, v84
	v_add_f16_e32 v4, v5, v4
	v_add_f16_e32 v107, v112, v107
	v_mul_f16_e32 v112, 0x3bf1, v67
	v_fma_f16 v97, v83, s7, v96
	v_add_f16_e32 v4, v6, v4
	v_fma_f16 v113, v21, s13, v112
	v_fma_f16 v106, v18, s16, -v106
	v_add_f16_e32 v88, v97, v88
	v_mul_f16_e32 v97, 0xba95, v87
	v_add_f16_e32 v4, v7, v4
	s_mov_b32 s14, 0xbbf1
	v_add_f16_e32 v107, v113, v107
	v_mul_f16_e32 v113, 0xb3a8, v48
	v_add_f16_e32 v106, v47, v106
	v_fma_f16 v108, v23, s7, -v108
	v_fma_f16 v98, v86, s17, v97
	v_add_f16_e32 v0, v0, v4
	s_mov_b32 s21, 0xb3a8
	v_fma_f16 v114, v25, s16, -v113
	v_mul_f16_e32 v115, 0x3770, v78
	v_add_f16_e32 v106, v108, v106
	v_fma_f16 v108, v24, s6, -v109
	v_add_f16_e32 v88, v98, v88
	v_mul_f16_e32 v98, 0xb94e, v90
	v_add_f16_e32 v0, v1, v0
	v_fma_f16 v1, v52, s14, v71
	v_add_f16_e32 v114, v17, v114
	v_fma_f16 v116, v77, s7, -v115
	v_add_f16_e32 v106, v108, v106
	v_fma_f16 v108, v19, s17, -v110
	s_movk_i32 s25, 0x3b7b
	v_fma_f16 v99, v89, s6, v98
	v_add_f16_e32 v0, v2, v0
	v_add_f16_e32 v1, v47, v1
	v_fma_f16 v2, v66, s21, v73
	s_movk_i32 s15, 0x3770
	v_add_f16_e32 v114, v116, v114
	v_mul_f16_e32 v116, 0xb94e, v81
	v_add_f16_e32 v106, v108, v106
	v_fma_f16 v108, v20, s0, -v111
	v_add_f16_e32 v88, v99, v88
	v_mul_f16_e32 v99, 0x388b, v18
	v_add_f16_e32 v1, v2, v1
	v_fma_f16 v2, v70, s25, v74
	s_mov_b32 s19, 0xba95
	v_fma_f16 v117, v80, s6, -v116
	v_add_f16_e32 v106, v108, v106
	v_fma_f16 v108, v21, s13, -v112
	v_fma_f16 v101, v52, s23, v99
	v_mul_f16_e32 v102, 0xb5ac, v23
	v_add_f16_e32 v1, v2, v1
	v_fma_f16 v2, v69, s15, v75
	s_mov_b32 s18, 0xb94e
	v_add_f16_e32 v114, v117, v114
	v_mul_f16_e32 v117, 0x3a95, v84
	v_add_f16_e32 v106, v108, v106
	v_fma_f16 v108, v25, s16, v113
	v_add_f16_e32 v101, v47, v101
	v_fma_f16 v103, v66, s25, v102
	;; [unrolled: 2-line block ×3, first 2 shown]
	v_fma_f16 v118, v83, s17, -v117
	v_add_f16_e32 v108, v17, v108
	v_fma_f16 v109, v77, s7, v115
	v_add_f16_e32 v101, v103, v101
	v_mul_f16_e32 v103, 0xbbc4, v24
	v_add_f16_e32 v1, v2, v1
	v_fma_f16 v2, v67, s18, v82
	v_add_f16_e32 v114, v118, v114
	v_mul_f16_e32 v118, 0xbb7b, v87
	v_add_f16_e32 v108, v109, v108
	v_fma_f16 v109, v80, s6, v116
	v_fma_f16 v104, v70, s22, v103
	v_add_f16_e32 v1, v2, v1
	v_fma_f16 v2, v25, s13, -v85
	v_fma_f16 v119, v86, s0, -v118
	v_add_f16_e32 v108, v109, v108
	v_fma_f16 v109, v83, s17, v117
	v_add_f16_e32 v101, v104, v101
	v_mul_f16_e32 v104, 0xb9fd, v19
	v_add_f16_e32 v0, v3, v0
	v_add_f16_e32 v2, v17, v2
	v_fma_f16 v3, v77, s16, -v91
	v_add_f16_e32 v114, v119, v114
	v_mul_f16_e32 v119, 0x3bf1, v90
	v_add_f16_e32 v108, v109, v108
	v_fma_f16 v109, v86, s0, v118
	v_fma_f16 v105, v69, s18, v104
	v_add_f16_e32 v2, v3, v2
	v_fma_f16 v3, v80, s0, -v95
	v_add_f16_e32 v108, v109, v108
	v_fma_f16 v109, v89, s13, v119
	v_add_f16_e32 v101, v105, v101
	v_mul_f16_e32 v105, 0x2fb7, v20
	v_add_f16_e32 v2, v3, v2
	v_fma_f16 v3, v83, s7, -v96
	v_add_f16_e32 v108, v109, v108
	v_fma_f16 v109, v68, s14, v105
	v_add_f16_e32 v2, v3, v2
	v_fma_f16 v3, v86, s17, -v97
	v_add_f16_e32 v101, v109, v101
	v_mul_f16_e32 v109, 0x3b15, v21
	v_add_f16_e32 v2, v3, v2
	v_fma_f16 v3, v89, s6, -v98
	v_fma_f16 v110, v67, s24, v109
	v_add_f16_e32 v2, v3, v2
	v_fma_f16 v3, v52, s19, v99
	v_add_f16_e32 v101, v110, v101
	v_mul_f16_e32 v110, 0xba95, v48
	v_add_f16_e32 v3, v47, v3
	v_fma_f16 v4, v66, s1, v102
	v_fma_f16 v111, v25, s17, v110
	v_mul_f16_e32 v112, 0xbb7b, v78
	v_add_f16_e32 v3, v4, v3
	v_fma_f16 v4, v70, s21, v103
	v_add_f16_e32 v111, v17, v111
	v_fma_f16 v113, v77, s0, v112
	;; [unrolled: 2-line block ×3, first 2 shown]
	v_add_f16_e32 v111, v113, v111
	v_mul_f16_e32 v113, 0xb3a8, v81
	v_add_f16_e32 v3, v4, v3
	v_fma_f16 v4, v68, s20, v105
	v_fma_f16 v115, v80, s16, v113
	v_add_f16_e32 v3, v4, v3
	v_fma_f16 v4, v67, s15, v109
	v_add_f16_e32 v111, v115, v111
	v_mul_f16_e32 v115, 0x394e, v84
	v_add_f16_e32 v3, v4, v3
	v_fma_f16 v4, v25, s17, -v110
	v_fma_f16 v116, v83, s6, v115
	v_add_f16_e32 v4, v17, v4
	v_fma_f16 v5, v77, s0, -v112
	v_add_f16_e32 v111, v116, v111
	v_mul_f16_e32 v116, 0x3bf1, v87
	v_add_f16_e32 v4, v5, v4
	v_fma_f16 v5, v80, s16, -v113
	v_fma_f16 v117, v86, s13, v116
	v_add_f16_e32 v4, v5, v4
	v_fma_f16 v5, v83, s6, -v115
	v_add_f16_e32 v111, v117, v111
	v_mul_f16_e32 v117, 0x3770, v90
	v_add_f16_e32 v4, v5, v4
	v_fma_f16 v5, v86, s13, -v116
	v_mul_f16_e32 v18, 0x3b15, v18
	v_add_f16_e32 v4, v5, v4
	v_fma_f16 v5, v89, s7, -v117
	v_fma_f16 v118, v89, s7, v117
	v_mul_f16_e32 v23, 0x388b, v23
	v_add_f16_e32 v4, v5, v4
	v_fma_f16 v5, v52, s24, v18
	v_add_f16_e32 v111, v118, v111
	v_fma_f16 v118, v52, s15, v18
	v_mul_f16_e32 v24, 0x2fb7, v24
	v_add_f16_e32 v5, v47, v5
	v_fma_f16 v6, v66, s19, v23
	v_fma_f16 v120, v89, s13, -v119
	v_add_f16_e32 v118, v47, v118
	v_fma_f16 v119, v66, s23, v23
	v_mul_f16_e32 v19, 0xb5ac, v19
	v_add_f16_e32 v50, v17, v50
	v_add_f16_e32 v5, v6, v5
	v_fma_f16 v6, v70, s14, v24
	v_add_f16_e32 v118, v119, v118
	v_fma_f16 v119, v70, s20, v24
	v_mul_f16_e32 v20, 0xb9fd, v20
	v_add_f16_e32 v50, v60, v50
	v_add_f16_e32 v5, v6, v5
	v_fma_f16 v6, v69, s1, v19
	v_add_f16_e32 v118, v119, v118
	v_fma_f16 v119, v69, s25, v19
	v_mul_f16_e32 v21, 0xbbc4, v21
	v_add_f16_e32 v50, v54, v50
	v_add_f16_e32 v5, v6, v5
	v_fma_f16 v6, v68, s18, v20
	v_add_f16_e32 v118, v119, v118
	v_fma_f16 v119, v68, s12, v20
	v_mul_f16_e32 v48, 0xb770, v48
	v_add_f16_e32 v28, v28, v50
	v_add_f16_e32 v5, v6, v5
	v_fma_f16 v6, v67, s21, v21
	v_add_f16_e32 v118, v119, v118
	v_fma_f16 v119, v67, s22, v21
	v_mul_f16_e32 v78, 0xba95, v78
	v_add_f16_e32 v27, v27, v28
	v_add_f16_e32 v5, v6, v5
	v_fma_f16 v6, v25, s7, -v48
	v_add_f16_e32 v118, v119, v118
	v_fma_f16 v119, v25, s7, v48
	v_mul_f16_e32 v81, 0xbbf1, v81
	v_add_f16_e32 v26, v26, v27
	v_add_f16_e32 v6, v17, v6
	v_fma_f16 v7, v77, s17, -v78
	v_add_f16_e32 v114, v120, v114
	v_add_f16_e32 v119, v17, v119
	v_fma_f16 v120, v77, s17, v78
	v_mul_f16_e32 v84, 0xbb7b, v84
	v_add_f16_e32 v26, v49, v26
	v_add_f16_e32 v6, v7, v6
	v_fma_f16 v7, v80, s13, -v81
	v_add_f16_e32 v119, v120, v119
	v_fma_f16 v120, v80, s13, v81
	v_mul_f16_e32 v87, 0xb94e, v87
	v_add_f16_e32 v26, v62, v26
	v_add_f16_e32 v6, v7, v6
	v_fma_f16 v7, v83, s0, -v84
	v_add_f16_e32 v119, v120, v119
	v_fma_f16 v120, v83, s0, v84
	v_mul_f16_e32 v90, 0xb3a8, v90
	v_add_f16_e32 v26, v64, v26
	v_add_f16_e32 v0, v8, v0
	;; [unrolled: 1-line block ×3, first 2 shown]
	v_fma_f16 v7, v86, s6, -v87
	v_add_f16_e32 v119, v120, v119
	v_fma_f16 v120, v86, s6, v87
	v_add_f16_e32 v26, v65, v26
	v_add_f16_e32 v0, v9, v0
	;; [unrolled: 1-line block ×3, first 2 shown]
	v_fma_f16 v7, v89, s16, -v90
	v_add_f16_e32 v119, v120, v119
	v_fma_f16 v120, v89, s16, v90
	v_add_f16_e32 v26, v61, v26
	v_add_f16_e32 v0, v10, v0
	;; [unrolled: 1-line block ×3, first 2 shown]
	v_mul_u32_u24_e32 v7, 0x4e, v43
	v_add_f16_e32 v119, v120, v119
	v_add_f16_e32 v26, v51, v26
	;; [unrolled: 1-line block ×3, first 2 shown]
	v_add_u32_e32 v7, v7, v44
	v_lshl_add_u32 v7, v7, 2, v42
	v_pack_b32_f16 v0, v26, v0
	v_pack_b32_f16 v8, v119, v118
	ds_write2_b32 v7, v0, v8 offset1:6
	v_pack_b32_f16 v0, v111, v101
	v_pack_b32_f16 v8, v88, v72
	ds_write2_b32 v7, v0, v8 offset0:12 offset1:18
	v_pack_b32_f16 v0, v63, v53
	v_pack_b32_f16 v8, v94, v92
	ds_write2_b32 v7, v0, v8 offset0:24 offset1:30
	;; [unrolled: 3-line block ×5, first 2 shown]
	v_pack_b32_f16 v0, v6, v5
	ds_write_b32 v7, v0 offset:288
.LBB0_17:
	s_or_b64 exec, exec, s[2:3]
	s_waitcnt lgkmcnt(0)
	s_barrier
	ds_read2_b32 v[0:1], v37 offset1:78
	ds_read2_b32 v[5:6], v37 offset0:156 offset1:234
	v_add_u32_e32 v19, 0x400, v37
	ds_read2_b32 v[7:8], v19 offset0:56 offset1:134
	v_add_u32_e32 v4, 0x600, v37
	;; [unrolled: 2-line block ×3, first 2 shown]
	s_waitcnt lgkmcnt(2)
	v_lshrrev_b32_e32 v11, 16, v5
	ds_read2_b32 v[17:18], v2 offset0:112 offset1:190
	v_mul_f16_sdwa v28, v12, v11 dst_sel:DWORD dst_unused:UNUSED_PAD src0_sel:WORD_1 src1_sel:DWORD
	s_waitcnt lgkmcnt(2)
	v_lshrrev_b32_e32 v20, 16, v7
	v_fma_f16 v28, v12, v5, v28
	v_mul_f16_sdwa v5, v12, v5 dst_sel:DWORD dst_unused:UNUSED_PAD src0_sel:WORD_1 src1_sel:DWORD
	v_fma_f16 v5, v12, v11, -v5
	v_mul_f16_sdwa v11, v13, v20 dst_sel:DWORD dst_unused:UNUSED_PAD src0_sel:WORD_1 src1_sel:DWORD
	s_waitcnt lgkmcnt(1)
	v_lshrrev_b32_e32 v21, 16, v9
	v_fma_f16 v11, v13, v7, v11
	v_mul_f16_sdwa v7, v13, v7 dst_sel:DWORD dst_unused:UNUSED_PAD src0_sel:WORD_1 src1_sel:DWORD
	v_fma_f16 v7, v13, v20, -v7
	;; [unrolled: 6-line block ×3, first 2 shown]
	v_mul_f16_sdwa v21, v15, v22 dst_sel:DWORD dst_unused:UNUSED_PAD src0_sel:WORD_1 src1_sel:DWORD
	v_lshrrev_b32_e32 v24, 16, v6
	v_fma_f16 v21, v15, v17, v21
	v_mul_f16_sdwa v17, v15, v17 dst_sel:DWORD dst_unused:UNUSED_PAD src0_sel:WORD_1 src1_sel:DWORD
	v_fma_f16 v17, v15, v22, -v17
	v_mul_f16_sdwa v22, v12, v24 dst_sel:DWORD dst_unused:UNUSED_PAD src0_sel:WORD_1 src1_sel:DWORD
	v_lshrrev_b32_e32 v25, 16, v8
	v_fma_f16 v22, v12, v6, v22
	v_mul_f16_sdwa v6, v12, v6 dst_sel:DWORD dst_unused:UNUSED_PAD src0_sel:WORD_1 src1_sel:DWORD
	v_fma_f16 v6, v12, v24, -v6
	;; [unrolled: 5-line block ×4, first 2 shown]
	v_mul_f16_sdwa v14, v15, v27 dst_sel:DWORD dst_unused:UNUSED_PAD src0_sel:WORD_1 src1_sel:DWORD
	v_add_f16_e32 v24, v11, v20
	v_fma_f16 v14, v15, v18, v14
	v_mul_f16_sdwa v18, v15, v18 dst_sel:DWORD dst_unused:UNUSED_PAD src0_sel:WORD_1 src1_sel:DWORD
	v_fma_f16 v24, v24, -0.5, v0
	v_sub_f16_e32 v25, v5, v17
	s_mov_b32 s0, 0xbb9c
	s_movk_i32 s3, 0x3b9c
	v_fma_f16 v15, v15, v27, -v18
	v_fma_f16 v26, v25, s0, v24
	v_sub_f16_e32 v27, v7, v9
	s_mov_b32 s1, 0xb8b4
	v_sub_f16_e32 v42, v28, v11
	v_sub_f16_e32 v43, v21, v20
	v_fma_f16 v24, v25, s3, v24
	s_movk_i32 s6, 0x38b4
	v_fma_f16 v26, v27, s1, v26
	v_add_f16_e32 v42, v42, v43
	s_movk_i32 s2, 0x34f2
	v_fma_f16 v24, v27, s6, v24
	v_add_f16_e32 v18, v0, v28
	v_fma_f16 v26, v42, s2, v26
	v_fma_f16 v24, v42, s2, v24
	v_add_f16_e32 v42, v28, v21
	v_lshrrev_b32_e32 v3, 16, v0
	v_add_f16_e32 v18, v18, v11
	v_fma_f16 v0, v42, -0.5, v0
	v_add_f16_e32 v18, v18, v20
	v_fma_f16 v42, v27, s3, v0
	v_fma_f16 v0, v27, s0, v0
	v_add_f16_e32 v27, v7, v9
	v_add_f16_e32 v18, v18, v21
	v_sub_f16_e32 v43, v11, v28
	v_sub_f16_e32 v44, v20, v21
	v_fma_f16 v27, v27, -0.5, v3
	v_sub_f16_e32 v21, v28, v21
	v_fma_f16 v42, v25, s1, v42
	v_add_f16_e32 v43, v43, v44
	v_fma_f16 v0, v25, s6, v0
	v_fma_f16 v28, v21, s3, v27
	v_sub_f16_e32 v11, v11, v20
	v_fma_f16 v42, v43, s2, v42
	v_fma_f16 v0, v43, s2, v0
	;; [unrolled: 1-line block ×3, first 2 shown]
	v_sub_f16_e32 v28, v5, v7
	v_sub_f16_e32 v43, v17, v9
	v_fma_f16 v27, v21, s0, v27
	v_add_f16_e32 v28, v28, v43
	v_fma_f16 v27, v11, s1, v27
	v_add_f16_e32 v25, v3, v5
	v_fma_f16 v20, v28, s2, v20
	v_fma_f16 v27, v28, s2, v27
	v_add_f16_e32 v28, v5, v17
	v_add_f16_e32 v25, v25, v7
	v_fma_f16 v3, v28, -0.5, v3
	v_add_f16_e32 v25, v25, v9
	v_fma_f16 v28, v11, s0, v3
	v_sub_f16_e32 v5, v7, v5
	v_sub_f16_e32 v7, v9, v17
	v_add_f16_e32 v9, v12, v13
	v_fma_f16 v28, v21, s6, v28
	v_add_f16_e32 v5, v5, v7
	v_fma_f16 v3, v11, s3, v3
	v_fma_f16 v9, v9, -0.5, v1
	v_sub_f16_e32 v11, v6, v15
	v_add_f16_e32 v25, v25, v17
	v_fma_f16 v7, v5, s2, v28
	v_fma_f16 v3, v21, s1, v3
	;; [unrolled: 1-line block ×3, first 2 shown]
	v_sub_f16_e32 v21, v8, v10
	v_sub_f16_e32 v28, v22, v12
	;; [unrolled: 1-line block ×3, first 2 shown]
	v_fma_f16 v9, v11, s3, v9
	v_fma_f16 v17, v21, s1, v17
	v_add_f16_e32 v28, v28, v43
	v_fma_f16 v9, v21, s6, v9
	v_fma_f16 v3, v5, s2, v3
	v_add_f16_e32 v5, v1, v22
	;; [unrolled: 3-line block ×3, first 2 shown]
	v_lshrrev_b32_e32 v23, 16, v1
	v_add_f16_e32 v5, v5, v12
	v_fma_f16 v1, v28, -0.5, v1
	v_add_f16_e32 v5, v5, v13
	v_fma_f16 v28, v21, s3, v1
	v_fma_f16 v1, v21, s0, v1
	v_add_f16_e32 v21, v8, v10
	v_add_f16_e32 v5, v5, v14
	v_sub_f16_e32 v43, v12, v22
	v_sub_f16_e32 v44, v13, v14
	v_fma_f16 v21, v21, -0.5, v23
	v_sub_f16_e32 v14, v22, v14
	v_fma_f16 v28, v11, s1, v28
	v_add_f16_e32 v43, v43, v44
	v_fma_f16 v1, v11, s6, v1
	v_fma_f16 v22, v14, s3, v21
	v_sub_f16_e32 v12, v12, v13
	v_fma_f16 v28, v43, s2, v28
	v_fma_f16 v1, v43, s2, v1
	;; [unrolled: 1-line block ×3, first 2 shown]
	v_sub_f16_e32 v22, v6, v8
	v_sub_f16_e32 v43, v15, v10
	v_fma_f16 v21, v14, s0, v21
	v_add_f16_e32 v22, v22, v43
	v_fma_f16 v21, v12, s1, v21
	v_add_f16_e32 v11, v23, v6
	v_fma_f16 v13, v22, s2, v13
	v_fma_f16 v21, v22, s2, v21
	v_add_f16_e32 v22, v6, v15
	v_add_f16_e32 v11, v11, v8
	v_fma_f16 v22, v22, -0.5, v23
	v_add_f16_e32 v11, v11, v10
	v_fma_f16 v23, v12, s0, v22
	v_sub_f16_e32 v6, v8, v6
	v_sub_f16_e32 v8, v10, v15
	v_add_f16_e32 v11, v11, v15
	v_fma_f16 v23, v14, s6, v23
	v_add_f16_e32 v6, v6, v8
	v_fma_f16 v10, v12, s3, v22
	v_pack_b32_f16 v7, v42, v7
	v_pack_b32_f16 v0, v0, v3
	v_fma_f16 v8, v6, s2, v23
	v_fma_f16 v10, v14, s1, v10
	s_barrier
	ds_write2_b32 v37, v7, v0 offset0:156 offset1:234
	v_pack_b32_f16 v0, v24, v27
	v_pack_b32_f16 v3, v5, v11
	v_fma_f16 v6, v6, s2, v10
	ds_write2_b32 v19, v0, v3 offset0:56 offset1:134
	v_pack_b32_f16 v0, v17, v13
	v_pack_b32_f16 v3, v28, v8
	;; [unrolled: 1-line block ×4, first 2 shown]
	ds_write2_b32 v4, v0, v3 offset0:84 offset1:162
	v_pack_b32_f16 v0, v1, v6
	v_pack_b32_f16 v1, v9, v21
	ds_write2_b32 v37, v10, v12 offset1:78
	ds_write2_b32 v2, v0, v1 offset0:112 offset1:190
	s_waitcnt lgkmcnt(0)
	s_barrier
	ds_read2_b32 v[0:1], v37 offset1:78
	ds_read2_b32 v[5:6], v19 offset0:56 offset1:134
	ds_read2_b32 v[7:8], v4 offset0:84 offset1:162
	;; [unrolled: 1-line block ×4, first 2 shown]
	s_mov_b32 s2, 0x15015015
	s_waitcnt lgkmcnt(4)
	v_lshrrev_b32_e32 v3, 16, v0
	s_waitcnt lgkmcnt(3)
	v_lshrrev_b32_e32 v13, 16, v6
	v_mul_f16_sdwa v24, v55, v13 dst_sel:DWORD dst_unused:UNUSED_PAD src0_sel:WORD_1 src1_sel:DWORD
	s_waitcnt lgkmcnt(2)
	v_lshrrev_b32_e32 v15, 16, v7
	v_fma_f16 v24, v55, v6, v24
	v_mul_f16_sdwa v6, v55, v6 dst_sel:DWORD dst_unused:UNUSED_PAD src0_sel:WORD_1 src1_sel:DWORD
	v_fma_f16 v6, v55, v13, -v6
	v_mul_f16_sdwa v13, v56, v15 dst_sel:DWORD dst_unused:UNUSED_PAD src0_sel:WORD_1 src1_sel:DWORD
	v_lshrrev_b32_e32 v18, 16, v8
	v_fma_f16 v13, v56, v7, v13
	v_mul_f16_sdwa v7, v56, v7 dst_sel:DWORD dst_unused:UNUSED_PAD src0_sel:WORD_1 src1_sel:DWORD
	v_fma_f16 v7, v56, v15, -v7
	v_mul_f16_sdwa v15, v57, v18 dst_sel:DWORD dst_unused:UNUSED_PAD src0_sel:WORD_1 src1_sel:DWORD
	s_waitcnt lgkmcnt(0)
	v_lshrrev_b32_e32 v21, 16, v11
	v_fma_f16 v15, v57, v8, v15
	v_mul_f16_sdwa v8, v57, v8 dst_sel:DWORD dst_unused:UNUSED_PAD src0_sel:WORD_1 src1_sel:DWORD
	v_fma_f16 v8, v57, v18, -v8
	v_mul_f16_sdwa v18, v58, v21 dst_sel:DWORD dst_unused:UNUSED_PAD src0_sel:WORD_1 src1_sel:DWORD
	v_lshrrev_b32_e32 v23, 16, v12
	v_fma_f16 v18, v58, v11, v18
	v_mul_f16_sdwa v11, v58, v11 dst_sel:DWORD dst_unused:UNUSED_PAD src0_sel:WORD_1 src1_sel:DWORD
	v_fma_f16 v11, v58, v21, -v11
	v_mul_f16_sdwa v21, v59, v23 dst_sel:DWORD dst_unused:UNUSED_PAD src0_sel:WORD_1 src1_sel:DWORD
	v_lshrrev_b32_e32 v14, 16, v1
	v_fma_f16 v21, v59, v12, v21
	v_mul_f16_sdwa v12, v59, v12 dst_sel:DWORD dst_unused:UNUSED_PAD src0_sel:WORD_1 src1_sel:DWORD
	v_fma_f16 v12, v59, v23, -v12
	v_sub_f16_e32 v23, v0, v24
	v_sub_f16_e32 v6, v3, v6
	;; [unrolled: 1-line block ×4, first 2 shown]
	v_lshrrev_b32_e32 v17, 16, v9
	v_lshrrev_b32_e32 v20, 16, v10
	v_fma_f16 v0, v0, 2.0, -v23
	v_fma_f16 v3, v3, 2.0, -v6
	;; [unrolled: 1-line block ×4, first 2 shown]
	v_sub_f16_e32 v15, v9, v15
	v_sub_f16_e32 v8, v17, v8
	;; [unrolled: 1-line block ×4, first 2 shown]
	v_pack_b32_f16 v0, v0, v3
	v_pack_b32_f16 v1, v1, v14
	v_lshrrev_b32_e32 v22, 16, v5
	v_fma_f16 v9, v9, 2.0, -v15
	v_fma_f16 v17, v17, 2.0, -v8
	;; [unrolled: 1-line block ×4, first 2 shown]
	ds_write2_b32 v37, v0, v1 offset1:78
	v_pack_b32_f16 v0, v13, v7
	v_pack_b32_f16 v1, v15, v8
	v_sub_f16_e32 v21, v5, v21
	v_sub_f16_e32 v12, v22, v12
	ds_write_b32 v37, v0 offset:1872
	v_pack_b32_f16 v0, v9, v17
	ds_write_b32 v46, v1 offset:1560
	v_pack_b32_f16 v1, v10, v20
	v_fma_f16 v5, v5, 2.0, -v21
	v_fma_f16 v22, v22, 2.0, -v12
	ds_write2_b32 v37, v0, v1 offset0:156 offset1:234
	v_pack_b32_f16 v0, v18, v11
	v_pack_b32_f16 v3, v23, v6
	ds_write_b32 v45, v0 offset:1560
	v_pack_b32_f16 v0, v5, v22
	ds_write2_b32 v19, v0, v3 offset0:56 offset1:134
	v_pack_b32_f16 v0, v21, v12
	ds_write_b32 v29, v0 offset:1560
	s_waitcnt lgkmcnt(0)
	s_barrier
	ds_read2_b32 v[5:6], v37 offset1:78
	s_mov_b32 s3, 0x3f550150
	v_mad_u64_u32 v[7:8], s[0:1], s10, v16, 0
	s_movk_i32 s6, 0x1ff
	s_waitcnt lgkmcnt(0)
	v_lshrrev_b32_e32 v10, 16, v5
	v_mul_f16_sdwa v0, v41, v10 dst_sel:DWORD dst_unused:UNUSED_PAD src0_sel:WORD_1 src1_sel:DWORD
	v_fma_f16 v0, v41, v5, v0
	v_cvt_f32_f16_e32 v0, v0
	v_mov_b32_e32 v3, v8
	v_mad_u64_u32 v[8:9], s[0:1], s11, v16, v[3:4]
	v_cvt_f64_f32_e32 v[0:1], v0
	s_movk_i32 s7, 0xffe
	v_mul_f16_sdwa v5, v41, v5 dst_sel:DWORD dst_unused:UNUSED_PAD src0_sel:WORD_1 src1_sel:DWORD
	v_fma_f16 v5, v41, v10, -v5
	v_mul_f64 v[0:1], v[0:1], s[2:3]
	v_cvt_f32_f16_e32 v5, v5
	s_movk_i32 s10, 0x40f
	s_mov_b32 s11, 0x8000
	v_lshlrev_b64 v[7:8], 2, v[7:8]
	v_and_or_b32 v0, v1, s6, v0
	v_cmp_ne_u32_e32 vcc, 0, v0
	v_cndmask_b32_e64 v0, 0, 1, vcc
	v_lshrrev_b32_e32 v3, 8, v1
	v_bfe_u32 v9, v1, 20, 11
	v_and_or_b32 v0, v3, s7, v0
	v_sub_u32_e32 v11, 0x3f1, v9
	v_or_b32_e32 v3, 0x1000, v0
	v_med3_i32 v11, v11, 0, 13
	v_lshrrev_b32_e32 v12, v11, v3
	v_lshlrev_b32_e32 v11, v11, v12
	v_cmp_ne_u32_e32 vcc, v11, v3
	v_cndmask_b32_e64 v3, 0, 1, vcc
	v_add_u32_e32 v11, 0xfffffc10, v9
	v_or_b32_e32 v3, v12, v3
	v_lshl_or_b32 v9, v11, 12, v0
	v_cmp_gt_i32_e32 vcc, 1, v11
	v_cndmask_b32_e32 v3, v9, v3, vcc
	v_and_b32_e32 v9, 7, v3
	v_cmp_lt_i32_e32 vcc, 5, v9
	v_cmp_eq_u32_e64 s[0:1], 3, v9
	v_cvt_f64_f32_e32 v[9:10], v5
	v_lshrrev_b32_e32 v3, 2, v3
	s_or_b64 vcc, s[0:1], vcc
	v_addc_co_u32_e32 v12, vcc, 0, v3, vcc
	v_mul_f64 v[9:10], v[9:10], s[2:3]
	v_mov_b32_e32 v3, 0x7c00
	v_cmp_gt_i32_e32 vcc, 31, v11
	v_cndmask_b32_e32 v5, v3, v12, vcc
	v_cmp_ne_u32_e32 vcc, 0, v0
	v_cndmask_b32_e64 v0, 0, 1, vcc
	v_lshl_or_b32 v0, v0, 9, v3
	v_cmp_eq_u32_e32 vcc, s10, v11
	v_cndmask_b32_e32 v0, v5, v0, vcc
	v_lshrrev_b32_e32 v1, 16, v1
	v_and_or_b32 v13, v1, s11, v0
	v_and_or_b32 v0, v10, s6, v9
	v_cmp_ne_u32_e32 vcc, 0, v0
	v_cndmask_b32_e64 v0, 0, 1, vcc
	v_lshrrev_b32_e32 v1, 8, v10
	v_bfe_u32 v5, v10, 20, 11
	v_and_or_b32 v0, v1, s7, v0
	v_sub_u32_e32 v9, 0x3f1, v5
	v_or_b32_e32 v1, 0x1000, v0
	v_med3_i32 v9, v9, 0, 13
	v_lshrrev_b32_e32 v11, v9, v1
	v_lshlrev_b32_e32 v9, v9, v11
	v_cmp_ne_u32_e32 vcc, v9, v1
	v_cndmask_b32_e64 v1, 0, 1, vcc
	v_add_u32_e32 v5, 0xfffffc10, v5
	v_or_b32_e32 v1, v11, v1
	v_lshl_or_b32 v9, v5, 12, v0
	v_cmp_gt_i32_e32 vcc, 1, v5
	v_cndmask_b32_e32 v1, v9, v1, vcc
	v_and_b32_e32 v9, 7, v1
	v_cmp_lt_i32_e32 vcc, 5, v9
	v_cmp_eq_u32_e64 s[0:1], 3, v9
	v_lshrrev_b32_e32 v1, 2, v1
	s_or_b64 vcc, s[0:1], vcc
	v_addc_co_u32_e32 v1, vcc, 0, v1, vcc
	v_cmp_gt_i32_e32 vcc, 31, v5
	v_cndmask_b32_e32 v1, v3, v1, vcc
	v_cmp_ne_u32_e32 vcc, 0, v0
	v_cndmask_b32_e64 v0, 0, 1, vcc
	v_lshl_or_b32 v0, v0, 9, v3
	v_cmp_eq_u32_e32 vcc, s10, v5
	v_mad_u64_u32 v[11:12], s[0:1], s8, v40, 0
	v_cndmask_b32_e32 v14, v1, v0, vcc
	ds_read2_b32 v[0:1], v19 offset0:56 offset1:134
	v_mov_b32_e32 v5, v12
	v_lshrrev_b32_e32 v15, 16, v10
	v_mad_u64_u32 v[9:10], s[0:1], s9, v40, v[5:6]
	s_waitcnt lgkmcnt(0)
	v_lshrrev_b32_e32 v5, 16, v1
	v_mul_f16_sdwa v10, v39, v5 dst_sel:DWORD dst_unused:UNUSED_PAD src0_sel:WORD_1 src1_sel:DWORD
	v_fma_f16 v10, v39, v1, v10
	v_cvt_f32_f16_e32 v10, v10
	v_mov_b32_e32 v12, v9
	v_and_or_b32 v14, v15, s11, v14
	v_and_b32_e32 v13, 0xffff, v13
	v_cvt_f64_f32_e32 v[9:10], v10
	v_lshl_or_b32 v13, v14, 16, v13
	v_mov_b32_e32 v14, s5
	v_add_co_u32_e32 v15, vcc, s4, v7
	v_mul_f64 v[9:10], v[9:10], s[2:3]
	v_addc_co_u32_e32 v14, vcc, v14, v8, vcc
	v_lshlrev_b64 v[7:8], 2, v[11:12]
	v_mul_f16_sdwa v1, v39, v1 dst_sel:DWORD dst_unused:UNUSED_PAD src0_sel:WORD_1 src1_sel:DWORD
	v_add_co_u32_e32 v7, vcc, v15, v7
	v_addc_co_u32_e32 v8, vcc, v14, v8, vcc
	v_and_or_b32 v9, v10, s6, v9
	v_cmp_ne_u32_e32 vcc, 0, v9
	v_cndmask_b32_e64 v9, 0, 1, vcc
	v_lshrrev_b32_e32 v11, 8, v10
	v_bfe_u32 v12, v10, 20, 11
	global_store_dword v[7:8], v13, off
	v_and_or_b32 v9, v11, s7, v9
	v_sub_u32_e32 v13, 0x3f1, v12
	v_or_b32_e32 v11, 0x1000, v9
	v_med3_i32 v13, v13, 0, 13
	v_lshrrev_b32_e32 v14, v13, v11
	v_lshlrev_b32_e32 v13, v13, v14
	v_cmp_ne_u32_e32 vcc, v13, v11
	v_fma_f16 v1, v39, v5, -v1
	v_cndmask_b32_e64 v11, 0, 1, vcc
	v_add_u32_e32 v13, 0xfffffc10, v12
	v_cvt_f32_f16_e32 v1, v1
	v_or_b32_e32 v11, v14, v11
	v_lshl_or_b32 v12, v13, 12, v9
	v_cmp_gt_i32_e32 vcc, 1, v13
	v_cndmask_b32_e32 v11, v12, v11, vcc
	v_and_b32_e32 v12, 7, v11
	v_cmp_lt_i32_e32 vcc, 5, v12
	v_cmp_eq_u32_e64 s[0:1], 3, v12
	v_lshrrev_b32_e32 v5, 2, v11
	v_cvt_f64_f32_e32 v[11:12], v1
	s_or_b64 vcc, s[0:1], vcc
	v_addc_co_u32_e32 v1, vcc, 0, v5, vcc
	v_mul_f64 v[11:12], v[11:12], s[2:3]
	v_cmp_gt_i32_e32 vcc, 31, v13
	v_cndmask_b32_e32 v1, v3, v1, vcc
	v_cmp_ne_u32_e32 vcc, 0, v9
	v_cndmask_b32_e64 v5, 0, 1, vcc
	v_lshl_or_b32 v5, v5, 9, v3
	v_cmp_eq_u32_e32 vcc, s10, v13
	v_cndmask_b32_e32 v1, v1, v5, vcc
	v_lshrrev_b32_e32 v5, 16, v10
	v_and_or_b32 v1, v5, s11, v1
	v_and_or_b32 v5, v12, s6, v11
	v_cmp_ne_u32_e32 vcc, 0, v5
	v_cndmask_b32_e64 v5, 0, 1, vcc
	v_lshrrev_b32_e32 v9, 8, v12
	v_bfe_u32 v10, v12, 20, 11
	v_and_or_b32 v5, v9, s7, v5
	v_sub_u32_e32 v11, 0x3f1, v10
	v_or_b32_e32 v9, 0x1000, v5
	v_med3_i32 v11, v11, 0, 13
	v_lshrrev_b32_e32 v13, v11, v9
	v_lshlrev_b32_e32 v11, v11, v13
	v_cmp_ne_u32_e32 vcc, v11, v9
	v_cndmask_b32_e64 v9, 0, 1, vcc
	v_add_u32_e32 v10, 0xfffffc10, v10
	v_or_b32_e32 v9, v13, v9
	v_lshl_or_b32 v11, v10, 12, v5
	v_cmp_gt_i32_e32 vcc, 1, v10
	v_cndmask_b32_e32 v9, v11, v9, vcc
	v_and_b32_e32 v11, 7, v9
	v_cmp_lt_i32_e32 vcc, 5, v11
	v_cmp_eq_u32_e64 s[0:1], 3, v11
	v_lshrrev_b32_e32 v9, 2, v9
	s_or_b64 vcc, s[0:1], vcc
	v_addc_co_u32_e32 v9, vcc, 0, v9, vcc
	v_cmp_gt_i32_e32 vcc, 31, v10
	v_cndmask_b32_e32 v9, v3, v9, vcc
	v_cmp_ne_u32_e32 vcc, 0, v5
	v_lshrrev_b32_e32 v11, 16, v6
	v_cndmask_b32_e64 v5, 0, 1, vcc
	v_cmp_eq_u32_e32 vcc, s10, v10
	v_mul_f16_sdwa v10, v38, v11 dst_sel:DWORD dst_unused:UNUSED_PAD src0_sel:WORD_1 src1_sel:DWORD
	v_fma_f16 v10, v38, v6, v10
	v_cvt_f32_f16_e32 v10, v10
	v_lshl_or_b32 v5, v5, 9, v3
	v_cndmask_b32_e32 v5, v9, v5, vcc
	v_lshrrev_b32_e32 v9, 16, v12
	v_and_or_b32 v5, v9, s11, v5
	v_cvt_f64_f32_e32 v[9:10], v10
	s_mul_i32 s0, s9, 0x618
	s_mul_hi_u32 s4, s8, 0x618
	v_and_b32_e32 v1, 0xffff, v1
	v_mul_f64 v[9:10], v[9:10], s[2:3]
	s_add_i32 s4, s4, s0
	s_mul_i32 s5, s8, 0x618
	v_lshl_or_b32 v1, v5, 16, v1
	v_mov_b32_e32 v5, s4
	v_add_co_u32_e32 v7, vcc, s5, v7
	v_addc_co_u32_e32 v8, vcc, v8, v5, vcc
	global_store_dword v[7:8], v1, off
	v_and_or_b32 v1, v10, s6, v9
	v_cmp_ne_u32_e32 vcc, 0, v1
	v_cndmask_b32_e64 v1, 0, 1, vcc
	v_lshrrev_b32_e32 v5, 8, v10
	v_bfe_u32 v9, v10, 20, 11
	v_and_or_b32 v1, v5, s7, v1
	v_sub_u32_e32 v12, 0x3f1, v9
	v_or_b32_e32 v5, 0x1000, v1
	v_med3_i32 v12, v12, 0, 13
	v_lshrrev_b32_e32 v13, v12, v5
	v_mul_f16_sdwa v6, v38, v6 dst_sel:DWORD dst_unused:UNUSED_PAD src0_sel:WORD_1 src1_sel:DWORD
	v_lshlrev_b32_e32 v12, v12, v13
	v_fma_f16 v6, v38, v11, -v6
	v_cmp_ne_u32_e32 vcc, v12, v5
	v_cvt_f32_f16_e32 v6, v6
	v_cndmask_b32_e64 v5, 0, 1, vcc
	v_add_u32_e32 v9, 0xfffffc10, v9
	v_or_b32_e32 v5, v13, v5
	v_lshl_or_b32 v12, v9, 12, v1
	v_cmp_gt_i32_e32 vcc, 1, v9
	v_cndmask_b32_e32 v5, v12, v5, vcc
	v_and_b32_e32 v12, 7, v5
	v_lshrrev_b32_e32 v11, 2, v5
	v_cvt_f64_f32_e32 v[5:6], v6
	v_cmp_lt_i32_e32 vcc, 5, v12
	v_cmp_eq_u32_e64 s[0:1], 3, v12
	s_or_b64 vcc, s[0:1], vcc
	v_mul_f64 v[5:6], v[5:6], s[2:3]
	v_addc_co_u32_e32 v11, vcc, 0, v11, vcc
	v_cmp_gt_i32_e32 vcc, 31, v9
	v_cndmask_b32_e32 v11, v3, v11, vcc
	v_cmp_ne_u32_e32 vcc, 0, v1
	v_cndmask_b32_e64 v1, 0, 1, vcc
	v_lshl_or_b32 v1, v1, 9, v3
	v_cmp_eq_u32_e32 vcc, s10, v9
	v_and_or_b32 v5, v6, s6, v5
	v_cndmask_b32_e32 v1, v11, v1, vcc
	v_lshrrev_b32_e32 v9, 16, v10
	v_cmp_ne_u32_e32 vcc, 0, v5
	v_and_or_b32 v1, v9, s11, v1
	v_cndmask_b32_e64 v5, 0, 1, vcc
	v_lshrrev_b32_e32 v9, 8, v6
	v_bfe_u32 v10, v6, 20, 11
	v_and_or_b32 v5, v9, s7, v5
	v_sub_u32_e32 v11, 0x3f1, v10
	v_or_b32_e32 v9, 0x1000, v5
	v_med3_i32 v11, v11, 0, 13
	v_lshrrev_b32_e32 v12, v11, v9
	v_lshlrev_b32_e32 v11, v11, v12
	v_cmp_ne_u32_e32 vcc, v11, v9
	v_cndmask_b32_e64 v9, 0, 1, vcc
	v_add_u32_e32 v10, 0xfffffc10, v10
	v_or_b32_e32 v9, v12, v9
	v_lshl_or_b32 v11, v10, 12, v5
	v_cmp_gt_i32_e32 vcc, 1, v10
	v_cndmask_b32_e32 v9, v11, v9, vcc
	v_and_b32_e32 v11, 7, v9
	v_cmp_lt_i32_e32 vcc, 5, v11
	v_cmp_eq_u32_e64 s[0:1], 3, v11
	v_lshrrev_b32_e32 v9, 2, v9
	s_or_b64 vcc, s[0:1], vcc
	v_addc_co_u32_e32 v9, vcc, 0, v9, vcc
	v_cmp_gt_i32_e32 vcc, 31, v10
	v_cndmask_b32_e32 v9, v3, v9, vcc
	v_cmp_ne_u32_e32 vcc, 0, v5
	v_cndmask_b32_e64 v5, 0, 1, vcc
	v_lshl_or_b32 v11, v5, 9, v3
	ds_read2_b32 v[4:5], v4 offset0:84 offset1:162
	v_cmp_eq_u32_e32 vcc, s10, v10
	v_cndmask_b32_e32 v9, v9, v11, vcc
	v_lshrrev_b32_e32 v6, 16, v6
	v_and_or_b32 v6, v6, s11, v9
	s_waitcnt lgkmcnt(0)
	v_lshrrev_b32_e32 v11, 16, v4
	v_mul_f16_sdwa v9, v36, v11 dst_sel:DWORD dst_unused:UNUSED_PAD src0_sel:WORD_1 src1_sel:DWORD
	v_fma_f16 v9, v36, v4, v9
	v_cvt_f32_f16_e32 v9, v9
	s_mul_hi_u32 s1, s8, 0xfffffb20
	s_mul_i32 s0, s9, 0xfffffb20
	s_sub_i32 s9, s1, s8
	v_cvt_f64_f32_e32 v[9:10], v9
	v_and_b32_e32 v1, 0xffff, v1
	s_add_i32 s9, s9, s0
	s_mulk_i32 s8, 0xfb20
	v_mul_f64 v[9:10], v[9:10], s[2:3]
	v_lshl_or_b32 v1, v6, 16, v1
	v_mov_b32_e32 v12, s9
	v_add_co_u32_e32 v6, vcc, s8, v7
	v_addc_co_u32_e32 v7, vcc, v8, v12, vcc
	global_store_dword v[6:7], v1, off
	v_and_or_b32 v1, v10, s6, v9
	v_cmp_ne_u32_e32 vcc, 0, v1
	v_cndmask_b32_e64 v1, 0, 1, vcc
	v_lshrrev_b32_e32 v8, 8, v10
	v_bfe_u32 v9, v10, 20, 11
	v_and_or_b32 v1, v8, s7, v1
	v_sub_u32_e32 v12, 0x3f1, v9
	v_or_b32_e32 v8, 0x1000, v1
	v_med3_i32 v12, v12, 0, 13
	v_lshrrev_b32_e32 v13, v12, v8
	v_lshlrev_b32_e32 v12, v12, v13
	v_mul_f16_sdwa v4, v36, v4 dst_sel:DWORD dst_unused:UNUSED_PAD src0_sel:WORD_1 src1_sel:DWORD
	v_cmp_ne_u32_e32 vcc, v12, v8
	v_fma_f16 v4, v36, v11, -v4
	v_cndmask_b32_e64 v8, 0, 1, vcc
	v_add_u32_e32 v12, 0xfffffc10, v9
	v_cvt_f32_f16_e32 v4, v4
	v_or_b32_e32 v8, v13, v8
	v_lshl_or_b32 v9, v12, 12, v1
	v_cmp_gt_i32_e32 vcc, 1, v12
	v_cndmask_b32_e32 v8, v9, v8, vcc
	v_and_b32_e32 v9, 7, v8
	v_cmp_lt_i32_e32 vcc, 5, v9
	v_cmp_eq_u32_e64 s[0:1], 3, v9
	v_lshrrev_b32_e32 v11, 2, v8
	v_cvt_f64_f32_e32 v[8:9], v4
	s_or_b64 vcc, s[0:1], vcc
	v_addc_co_u32_e32 v4, vcc, 0, v11, vcc
	v_mul_f64 v[8:9], v[8:9], s[2:3]
	v_cmp_gt_i32_e32 vcc, 31, v12
	v_cndmask_b32_e32 v4, v3, v4, vcc
	v_cmp_ne_u32_e32 vcc, 0, v1
	v_cndmask_b32_e64 v1, 0, 1, vcc
	v_lshl_or_b32 v1, v1, 9, v3
	v_cmp_eq_u32_e32 vcc, s10, v12
	v_cndmask_b32_e32 v1, v4, v1, vcc
	v_lshrrev_b32_e32 v4, 16, v10
	v_and_or_b32 v1, v4, s11, v1
	v_and_or_b32 v4, v9, s6, v8
	v_cmp_ne_u32_e32 vcc, 0, v4
	v_cndmask_b32_e64 v4, 0, 1, vcc
	v_lshrrev_b32_e32 v8, 8, v9
	v_bfe_u32 v10, v9, 20, 11
	v_and_or_b32 v4, v8, s7, v4
	v_sub_u32_e32 v11, 0x3f1, v10
	v_or_b32_e32 v8, 0x1000, v4
	v_med3_i32 v11, v11, 0, 13
	v_lshrrev_b32_e32 v12, v11, v8
	v_lshlrev_b32_e32 v11, v11, v12
	v_cmp_ne_u32_e32 vcc, v11, v8
	v_cndmask_b32_e64 v8, 0, 1, vcc
	v_or_b32_e32 v8, v12, v8
	v_add_u32_e32 v12, 0xfffffc10, v10
	v_lshl_or_b32 v10, v12, 12, v4
	v_cmp_gt_i32_e32 vcc, 1, v12
	v_cndmask_b32_e32 v8, v10, v8, vcc
	v_and_b32_e32 v10, 7, v8
	v_cmp_lt_i32_e32 vcc, 5, v10
	v_cmp_eq_u32_e64 s[0:1], 3, v10
	ds_read2_b32 v[10:11], v37 offset0:156 offset1:234
	v_lshrrev_b32_e32 v8, 2, v8
	s_or_b64 vcc, s[0:1], vcc
	v_addc_co_u32_e32 v8, vcc, 0, v8, vcc
	s_waitcnt lgkmcnt(0)
	v_lshrrev_b32_e32 v14, 16, v10
	v_mul_f16_sdwa v13, v35, v14 dst_sel:DWORD dst_unused:UNUSED_PAD src0_sel:WORD_1 src1_sel:DWORD
	v_fma_f16 v13, v35, v10, v13
	v_cvt_f32_f16_e32 v13, v13
	v_cmp_gt_i32_e32 vcc, 31, v12
	v_cndmask_b32_e32 v8, v3, v8, vcc
	v_cmp_ne_u32_e32 vcc, 0, v4
	v_cndmask_b32_e64 v4, 0, 1, vcc
	v_cmp_eq_u32_e32 vcc, s10, v12
	v_cvt_f64_f32_e32 v[12:13], v13
	v_lshl_or_b32 v4, v4, 9, v3
	v_cndmask_b32_e32 v4, v8, v4, vcc
	v_lshrrev_b32_e32 v8, 16, v9
	v_and_or_b32 v4, v8, s11, v4
	v_mul_f64 v[8:9], v[12:13], s[2:3]
	v_and_b32_e32 v1, 0xffff, v1
	v_lshl_or_b32 v1, v4, 16, v1
	v_mov_b32_e32 v4, s4
	v_add_co_u32_e32 v6, vcc, s5, v6
	v_addc_co_u32_e32 v7, vcc, v7, v4, vcc
	global_store_dword v[6:7], v1, off
	v_and_or_b32 v1, v9, s6, v8
	v_cmp_ne_u32_e32 vcc, 0, v1
	v_cndmask_b32_e64 v1, 0, 1, vcc
	v_lshrrev_b32_e32 v4, 8, v9
	v_bfe_u32 v8, v9, 20, 11
	v_and_or_b32 v1, v4, s7, v1
	v_sub_u32_e32 v12, 0x3f1, v8
	v_or_b32_e32 v4, 0x1000, v1
	v_med3_i32 v12, v12, 0, 13
	v_lshrrev_b32_e32 v13, v12, v4
	v_lshlrev_b32_e32 v12, v12, v13
	v_mul_f16_sdwa v10, v35, v10 dst_sel:DWORD dst_unused:UNUSED_PAD src0_sel:WORD_1 src1_sel:DWORD
	v_cmp_ne_u32_e32 vcc, v12, v4
	v_fma_f16 v10, v35, v14, -v10
	v_cndmask_b32_e64 v4, 0, 1, vcc
	v_add_u32_e32 v8, 0xfffffc10, v8
	v_cvt_f32_f16_e32 v10, v10
	v_or_b32_e32 v4, v13, v4
	v_lshl_or_b32 v12, v8, 12, v1
	v_cmp_gt_i32_e32 vcc, 1, v8
	v_cndmask_b32_e32 v4, v12, v4, vcc
	v_and_b32_e32 v12, 7, v4
	v_cmp_lt_i32_e32 vcc, 5, v12
	v_cmp_eq_u32_e64 s[0:1], 3, v12
	v_cvt_f64_f32_e32 v[12:13], v10
	v_lshrrev_b32_e32 v4, 2, v4
	s_or_b64 vcc, s[0:1], vcc
	v_addc_co_u32_e32 v4, vcc, 0, v4, vcc
	v_mul_f64 v[12:13], v[12:13], s[2:3]
	v_cmp_gt_i32_e32 vcc, 31, v8
	v_cndmask_b32_e32 v4, v3, v4, vcc
	v_cmp_ne_u32_e32 vcc, 0, v1
	v_cndmask_b32_e64 v1, 0, 1, vcc
	v_lshl_or_b32 v1, v1, 9, v3
	v_cmp_eq_u32_e32 vcc, s10, v8
	v_cndmask_b32_e32 v1, v4, v1, vcc
	v_lshrrev_b32_e32 v4, 16, v9
	v_and_or_b32 v1, v4, s11, v1
	v_and_or_b32 v4, v13, s6, v12
	v_cmp_ne_u32_e32 vcc, 0, v4
	v_cndmask_b32_e64 v4, 0, 1, vcc
	v_lshrrev_b32_e32 v8, 8, v13
	v_bfe_u32 v9, v13, 20, 11
	v_and_or_b32 v4, v8, s7, v4
	v_sub_u32_e32 v10, 0x3f1, v9
	v_or_b32_e32 v8, 0x1000, v4
	v_med3_i32 v10, v10, 0, 13
	v_lshrrev_b32_e32 v12, v10, v8
	v_lshlrev_b32_e32 v10, v10, v12
	v_cmp_ne_u32_e32 vcc, v10, v8
	v_cndmask_b32_e64 v8, 0, 1, vcc
	v_add_u32_e32 v9, 0xfffffc10, v9
	v_or_b32_e32 v8, v12, v8
	v_lshl_or_b32 v10, v9, 12, v4
	v_cmp_gt_i32_e32 vcc, 1, v9
	v_cndmask_b32_e32 v8, v10, v8, vcc
	v_and_b32_e32 v10, 7, v8
	v_cmp_lt_i32_e32 vcc, 5, v10
	v_cmp_eq_u32_e64 s[0:1], 3, v10
	v_lshrrev_b32_e32 v10, 16, v5
	v_lshrrev_b32_e32 v8, 2, v8
	s_or_b64 vcc, s[0:1], vcc
	v_mul_f16_sdwa v12, v34, v10 dst_sel:DWORD dst_unused:UNUSED_PAD src0_sel:WORD_1 src1_sel:DWORD
	v_addc_co_u32_e32 v8, vcc, 0, v8, vcc
	v_fma_f16 v12, v34, v5, v12
	v_cmp_gt_i32_e32 vcc, 31, v9
	v_cvt_f32_f16_e32 v12, v12
	v_cndmask_b32_e32 v8, v3, v8, vcc
	v_cmp_ne_u32_e32 vcc, 0, v4
	v_cndmask_b32_e64 v4, 0, 1, vcc
	v_lshl_or_b32 v4, v4, 9, v3
	v_cmp_eq_u32_e32 vcc, s10, v9
	v_cndmask_b32_e32 v4, v8, v4, vcc
	v_cvt_f64_f32_e32 v[8:9], v12
	v_lshrrev_b32_e32 v12, 16, v13
	v_and_or_b32 v4, v12, s11, v4
	v_and_b32_e32 v1, 0xffff, v1
	v_mul_f64 v[8:9], v[8:9], s[2:3]
	v_lshl_or_b32 v1, v4, 16, v1
	v_mov_b32_e32 v4, s9
	v_add_co_u32_e32 v6, vcc, s8, v6
	v_addc_co_u32_e32 v7, vcc, v7, v4, vcc
	global_store_dword v[6:7], v1, off
	v_and_or_b32 v1, v9, s6, v8
	v_cmp_ne_u32_e32 vcc, 0, v1
	v_cndmask_b32_e64 v1, 0, 1, vcc
	v_lshrrev_b32_e32 v4, 8, v9
	v_bfe_u32 v8, v9, 20, 11
	v_and_or_b32 v1, v4, s7, v1
	v_sub_u32_e32 v12, 0x3f1, v8
	v_or_b32_e32 v4, 0x1000, v1
	v_med3_i32 v12, v12, 0, 13
	v_lshrrev_b32_e32 v13, v12, v4
	v_mul_f16_sdwa v5, v34, v5 dst_sel:DWORD dst_unused:UNUSED_PAD src0_sel:WORD_1 src1_sel:DWORD
	v_lshlrev_b32_e32 v12, v12, v13
	v_fma_f16 v5, v34, v10, -v5
	v_cmp_ne_u32_e32 vcc, v12, v4
	v_cvt_f32_f16_e32 v5, v5
	v_cndmask_b32_e64 v4, 0, 1, vcc
	v_add_u32_e32 v8, 0xfffffc10, v8
	v_or_b32_e32 v4, v13, v4
	v_lshl_or_b32 v12, v8, 12, v1
	v_cmp_gt_i32_e32 vcc, 1, v8
	v_cndmask_b32_e32 v4, v12, v4, vcc
	v_and_b32_e32 v12, 7, v4
	v_lshrrev_b32_e32 v10, 2, v4
	v_cvt_f64_f32_e32 v[4:5], v5
	v_cmp_lt_i32_e32 vcc, 5, v12
	v_cmp_eq_u32_e64 s[0:1], 3, v12
	s_or_b64 vcc, s[0:1], vcc
	v_mul_f64 v[4:5], v[4:5], s[2:3]
	v_addc_co_u32_e32 v10, vcc, 0, v10, vcc
	v_cmp_gt_i32_e32 vcc, 31, v8
	v_cndmask_b32_e32 v10, v3, v10, vcc
	v_cmp_ne_u32_e32 vcc, 0, v1
	v_cndmask_b32_e64 v1, 0, 1, vcc
	v_lshl_or_b32 v1, v1, 9, v3
	v_cmp_eq_u32_e32 vcc, s10, v8
	v_and_or_b32 v4, v5, s6, v4
	v_cndmask_b32_e32 v1, v10, v1, vcc
	v_lshrrev_b32_e32 v8, 16, v9
	v_cmp_ne_u32_e32 vcc, 0, v4
	v_and_or_b32 v1, v8, s11, v1
	v_cndmask_b32_e64 v4, 0, 1, vcc
	v_lshrrev_b32_e32 v8, 8, v5
	v_bfe_u32 v9, v5, 20, 11
	v_and_or_b32 v4, v8, s7, v4
	v_sub_u32_e32 v10, 0x3f1, v9
	v_or_b32_e32 v8, 0x1000, v4
	v_med3_i32 v10, v10, 0, 13
	v_lshrrev_b32_e32 v12, v10, v8
	v_lshlrev_b32_e32 v10, v10, v12
	v_cmp_ne_u32_e32 vcc, v10, v8
	v_cndmask_b32_e64 v8, 0, 1, vcc
	v_add_u32_e32 v9, 0xfffffc10, v9
	v_or_b32_e32 v8, v12, v8
	v_lshl_or_b32 v10, v9, 12, v4
	v_cmp_gt_i32_e32 vcc, 1, v9
	v_cndmask_b32_e32 v8, v10, v8, vcc
	v_and_b32_e32 v10, 7, v8
	v_cmp_lt_i32_e32 vcc, 5, v10
	v_cmp_eq_u32_e64 s[0:1], 3, v10
	v_lshrrev_b32_e32 v10, 16, v11
	v_lshrrev_b32_e32 v8, 2, v8
	s_or_b64 vcc, s[0:1], vcc
	v_mul_f16_sdwa v12, v33, v10 dst_sel:DWORD dst_unused:UNUSED_PAD src0_sel:WORD_1 src1_sel:DWORD
	v_addc_co_u32_e32 v8, vcc, 0, v8, vcc
	v_fma_f16 v12, v33, v11, v12
	v_cmp_gt_i32_e32 vcc, 31, v9
	v_cvt_f32_f16_e32 v12, v12
	v_cndmask_b32_e32 v8, v3, v8, vcc
	v_cmp_ne_u32_e32 vcc, 0, v4
	v_cndmask_b32_e64 v4, 0, 1, vcc
	v_lshl_or_b32 v4, v4, 9, v3
	v_cmp_eq_u32_e32 vcc, s10, v9
	v_cndmask_b32_e32 v4, v8, v4, vcc
	v_cvt_f64_f32_e32 v[8:9], v12
	v_lshrrev_b32_e32 v5, 16, v5
	v_and_or_b32 v12, v5, s11, v4
	v_and_b32_e32 v1, 0xffff, v1
	v_mul_f64 v[4:5], v[8:9], s[2:3]
	v_mov_b32_e32 v8, s4
	v_add_co_u32_e32 v6, vcc, s5, v6
	v_lshl_or_b32 v1, v12, 16, v1
	v_addc_co_u32_e32 v7, vcc, v7, v8, vcc
	global_store_dword v[6:7], v1, off
	v_and_or_b32 v1, v5, s6, v4
	v_cmp_ne_u32_e32 vcc, 0, v1
	v_cndmask_b32_e64 v1, 0, 1, vcc
	v_lshrrev_b32_e32 v4, 8, v5
	v_bfe_u32 v8, v5, 20, 11
	v_and_or_b32 v1, v4, s7, v1
	v_sub_u32_e32 v9, 0x3f1, v8
	v_or_b32_e32 v4, 0x1000, v1
	v_med3_i32 v9, v9, 0, 13
	v_lshrrev_b32_e32 v12, v9, v4
	v_lshlrev_b32_e32 v9, v9, v12
	v_cmp_ne_u32_e32 vcc, v9, v4
	v_mul_f16_sdwa v9, v33, v11 dst_sel:DWORD dst_unused:UNUSED_PAD src0_sel:WORD_1 src1_sel:DWORD
	v_cndmask_b32_e64 v4, 0, 1, vcc
	v_fma_f16 v9, v33, v10, -v9
	v_or_b32_e32 v4, v12, v4
	v_add_u32_e32 v12, 0xfffffc10, v8
	v_cvt_f32_f16_e32 v9, v9
	v_lshl_or_b32 v8, v12, 12, v1
	v_cmp_gt_i32_e32 vcc, 1, v12
	v_cndmask_b32_e32 v4, v8, v4, vcc
	v_and_b32_e32 v8, 7, v4
	v_cmp_lt_i32_e32 vcc, 5, v8
	v_cmp_eq_u32_e64 s[0:1], 3, v8
	v_cvt_f64_f32_e32 v[8:9], v9
	v_lshrrev_b32_e32 v4, 2, v4
	s_or_b64 vcc, s[0:1], vcc
	v_addc_co_u32_e32 v4, vcc, 0, v4, vcc
	v_mul_f64 v[8:9], v[8:9], s[2:3]
	v_cmp_gt_i32_e32 vcc, 31, v12
	v_cndmask_b32_e32 v4, v3, v4, vcc
	v_cmp_ne_u32_e32 vcc, 0, v1
	v_cndmask_b32_e64 v1, 0, 1, vcc
	v_lshl_or_b32 v1, v1, 9, v3
	v_cmp_eq_u32_e32 vcc, s10, v12
	v_cndmask_b32_e32 v1, v4, v1, vcc
	v_lshrrev_b32_e32 v4, 16, v5
	v_and_or_b32 v10, v4, s11, v1
	v_and_or_b32 v1, v9, s6, v8
	v_cmp_ne_u32_e32 vcc, 0, v1
	v_cndmask_b32_e64 v1, 0, 1, vcc
	v_lshrrev_b32_e32 v4, 8, v9
	v_bfe_u32 v5, v9, 20, 11
	v_and_or_b32 v4, v4, s7, v1
	v_sub_u32_e32 v8, 0x3f1, v5
	v_or_b32_e32 v1, 0x1000, v4
	v_med3_i32 v8, v8, 0, 13
	v_lshrrev_b32_e32 v11, v8, v1
	v_lshlrev_b32_e32 v8, v8, v11
	v_cmp_ne_u32_e32 vcc, v8, v1
	v_cndmask_b32_e64 v1, 0, 1, vcc
	v_add_u32_e32 v5, 0xfffffc10, v5
	v_or_b32_e32 v1, v11, v1
	v_lshl_or_b32 v8, v5, 12, v4
	v_cmp_gt_i32_e32 vcc, 1, v5
	v_cndmask_b32_e32 v1, v8, v1, vcc
	v_and_b32_e32 v8, 7, v1
	v_cmp_lt_i32_e32 vcc, 5, v8
	v_cmp_eq_u32_e64 s[0:1], 3, v8
	v_lshrrev_b32_e32 v1, 2, v1
	s_or_b64 vcc, s[0:1], vcc
	v_addc_co_u32_e32 v8, vcc, 0, v1, vcc
	ds_read2_b32 v[1:2], v2 offset0:112 offset1:190
	v_cmp_gt_i32_e32 vcc, 31, v5
	v_cndmask_b32_e32 v8, v3, v8, vcc
	v_cmp_ne_u32_e32 vcc, 0, v4
	v_cndmask_b32_e64 v4, 0, 1, vcc
	s_waitcnt lgkmcnt(0)
	v_lshrrev_b32_e32 v11, 16, v1
	v_mul_f16_sdwa v12, v32, v11 dst_sel:DWORD dst_unused:UNUSED_PAD src0_sel:WORD_1 src1_sel:DWORD
	v_fma_f16 v12, v32, v1, v12
	v_cvt_f32_f16_e32 v12, v12
	v_lshl_or_b32 v4, v4, 9, v3
	v_cmp_eq_u32_e32 vcc, s10, v5
	v_cndmask_b32_e32 v8, v8, v4, vcc
	v_cvt_f64_f32_e32 v[4:5], v12
	v_lshrrev_b32_e32 v9, 16, v9
	v_and_or_b32 v8, v9, s11, v8
	v_and_b32_e32 v9, 0xffff, v10
	v_mul_f64 v[4:5], v[4:5], s[2:3]
	v_lshl_or_b32 v8, v8, 16, v9
	v_mov_b32_e32 v9, s9
	v_add_co_u32_e32 v6, vcc, s8, v6
	v_addc_co_u32_e32 v7, vcc, v7, v9, vcc
	global_store_dword v[6:7], v8, off
	v_and_or_b32 v4, v5, s6, v4
	v_cmp_ne_u32_e32 vcc, 0, v4
	v_cndmask_b32_e64 v4, 0, 1, vcc
	v_lshrrev_b32_e32 v8, 8, v5
	v_bfe_u32 v9, v5, 20, 11
	v_and_or_b32 v4, v8, s7, v4
	v_sub_u32_e32 v10, 0x3f1, v9
	v_or_b32_e32 v8, 0x1000, v4
	v_med3_i32 v10, v10, 0, 13
	v_lshrrev_b32_e32 v12, v10, v8
	v_lshlrev_b32_e32 v10, v10, v12
	v_mul_f16_sdwa v1, v32, v1 dst_sel:DWORD dst_unused:UNUSED_PAD src0_sel:WORD_1 src1_sel:DWORD
	v_cmp_ne_u32_e32 vcc, v10, v8
	v_fma_f16 v1, v32, v11, -v1
	v_cndmask_b32_e64 v8, 0, 1, vcc
	v_add_u32_e32 v10, 0xfffffc10, v9
	v_cvt_f32_f16_e32 v1, v1
	v_or_b32_e32 v8, v12, v8
	v_lshl_or_b32 v9, v10, 12, v4
	v_cmp_gt_i32_e32 vcc, 1, v10
	v_cndmask_b32_e32 v8, v9, v8, vcc
	v_and_b32_e32 v9, 7, v8
	v_cmp_lt_i32_e32 vcc, 5, v9
	v_cmp_eq_u32_e64 s[0:1], 3, v9
	v_lshrrev_b32_e32 v11, 2, v8
	v_cvt_f64_f32_e32 v[8:9], v1
	s_or_b64 vcc, s[0:1], vcc
	v_addc_co_u32_e32 v1, vcc, 0, v11, vcc
	v_mul_f64 v[8:9], v[8:9], s[2:3]
	v_cmp_gt_i32_e32 vcc, 31, v10
	v_cndmask_b32_e32 v1, v3, v1, vcc
	v_cmp_ne_u32_e32 vcc, 0, v4
	v_cndmask_b32_e64 v4, 0, 1, vcc
	v_lshl_or_b32 v4, v4, 9, v3
	v_cmp_eq_u32_e32 vcc, s10, v10
	v_cndmask_b32_e32 v1, v1, v4, vcc
	v_lshrrev_b32_e32 v4, 16, v5
	v_and_or_b32 v1, v4, s11, v1
	v_and_or_b32 v4, v9, s6, v8
	v_cmp_ne_u32_e32 vcc, 0, v4
	v_cndmask_b32_e64 v4, 0, 1, vcc
	v_lshrrev_b32_e32 v5, 8, v9
	v_bfe_u32 v8, v9, 20, 11
	v_and_or_b32 v4, v5, s7, v4
	v_sub_u32_e32 v10, 0x3f1, v8
	v_or_b32_e32 v5, 0x1000, v4
	v_med3_i32 v10, v10, 0, 13
	v_lshrrev_b32_e32 v11, v10, v5
	v_lshlrev_b32_e32 v10, v10, v11
	v_cmp_ne_u32_e32 vcc, v10, v5
	v_cndmask_b32_e64 v5, 0, 1, vcc
	v_add_u32_e32 v8, 0xfffffc10, v8
	v_or_b32_e32 v5, v11, v5
	v_lshl_or_b32 v10, v8, 12, v4
	v_cmp_gt_i32_e32 vcc, 1, v8
	v_cndmask_b32_e32 v5, v10, v5, vcc
	v_and_b32_e32 v10, 7, v5
	v_cmp_lt_i32_e32 vcc, 5, v10
	v_cmp_eq_u32_e64 s[0:1], 3, v10
	v_lshrrev_b32_e32 v10, 16, v0
	v_lshrrev_b32_e32 v5, 2, v5
	s_or_b64 vcc, s[0:1], vcc
	v_mul_f16_sdwa v11, v31, v10 dst_sel:DWORD dst_unused:UNUSED_PAD src0_sel:WORD_1 src1_sel:DWORD
	v_addc_co_u32_e32 v5, vcc, 0, v5, vcc
	v_fma_f16 v11, v31, v0, v11
	v_cmp_gt_i32_e32 vcc, 31, v8
	v_cvt_f32_f16_e32 v11, v11
	v_cndmask_b32_e32 v5, v3, v5, vcc
	v_cmp_ne_u32_e32 vcc, 0, v4
	v_cndmask_b32_e64 v4, 0, 1, vcc
	v_lshl_or_b32 v4, v4, 9, v3
	v_cmp_eq_u32_e32 vcc, s10, v8
	v_cndmask_b32_e32 v8, v5, v4, vcc
	v_cvt_f64_f32_e32 v[4:5], v11
	v_lshrrev_b32_e32 v9, 16, v9
	v_and_or_b32 v8, v9, s11, v8
	v_and_b32_e32 v1, 0xffff, v1
	v_mul_f64 v[4:5], v[4:5], s[2:3]
	v_lshl_or_b32 v1, v8, 16, v1
	v_mov_b32_e32 v8, s4
	v_add_co_u32_e32 v6, vcc, s5, v6
	v_addc_co_u32_e32 v7, vcc, v7, v8, vcc
	global_store_dword v[6:7], v1, off
	v_and_or_b32 v1, v5, s6, v4
	v_cmp_ne_u32_e32 vcc, 0, v1
	v_cndmask_b32_e64 v1, 0, 1, vcc
	v_lshrrev_b32_e32 v4, 8, v5
	v_bfe_u32 v8, v5, 20, 11
	v_and_or_b32 v4, v4, s7, v1
	v_sub_u32_e32 v9, 0x3f1, v8
	v_or_b32_e32 v1, 0x1000, v4
	v_med3_i32 v9, v9, 0, 13
	v_lshrrev_b32_e32 v11, v9, v1
	v_lshlrev_b32_e32 v9, v9, v11
	v_mul_f16_sdwa v0, v31, v0 dst_sel:DWORD dst_unused:UNUSED_PAD src0_sel:WORD_1 src1_sel:DWORD
	v_cmp_ne_u32_e32 vcc, v9, v1
	v_fma_f16 v0, v31, v10, -v0
	v_cndmask_b32_e64 v1, 0, 1, vcc
	v_add_u32_e32 v8, 0xfffffc10, v8
	v_cvt_f32_f16_e32 v0, v0
	v_or_b32_e32 v1, v11, v1
	v_lshl_or_b32 v9, v8, 12, v4
	v_cmp_gt_i32_e32 vcc, 1, v8
	v_cndmask_b32_e32 v1, v9, v1, vcc
	v_and_b32_e32 v9, 7, v1
	v_cmp_lt_i32_e32 vcc, 5, v9
	v_cmp_eq_u32_e64 s[0:1], 3, v9
	v_lshrrev_b32_e32 v9, 2, v1
	v_cvt_f64_f32_e32 v[0:1], v0
	s_or_b64 vcc, s[0:1], vcc
	v_addc_co_u32_e32 v9, vcc, 0, v9, vcc
	v_mul_f64 v[0:1], v[0:1], s[2:3]
	v_cmp_gt_i32_e32 vcc, 31, v8
	v_cndmask_b32_e32 v9, v3, v9, vcc
	v_cmp_ne_u32_e32 vcc, 0, v4
	v_cndmask_b32_e64 v4, 0, 1, vcc
	v_lshl_or_b32 v4, v4, 9, v3
	v_cmp_eq_u32_e32 vcc, s10, v8
	v_cndmask_b32_e32 v4, v9, v4, vcc
	v_and_or_b32 v0, v1, s6, v0
	v_lshrrev_b32_e32 v5, 16, v5
	v_cmp_ne_u32_e32 vcc, 0, v0
	v_and_or_b32 v8, v5, s11, v4
	v_cndmask_b32_e64 v0, 0, 1, vcc
	v_lshrrev_b32_e32 v4, 8, v1
	v_bfe_u32 v5, v1, 20, 11
	v_and_or_b32 v0, v4, s7, v0
	v_sub_u32_e32 v9, 0x3f1, v5
	v_or_b32_e32 v4, 0x1000, v0
	v_med3_i32 v9, v9, 0, 13
	v_lshrrev_b32_e32 v10, v9, v4
	v_lshlrev_b32_e32 v9, v9, v10
	v_cmp_ne_u32_e32 vcc, v9, v4
	v_cndmask_b32_e64 v4, 0, 1, vcc
	v_add_u32_e32 v5, 0xfffffc10, v5
	v_or_b32_e32 v4, v10, v4
	v_lshl_or_b32 v9, v5, 12, v0
	v_cmp_gt_i32_e32 vcc, 1, v5
	v_cndmask_b32_e32 v4, v9, v4, vcc
	v_and_b32_e32 v9, 7, v4
	v_cmp_lt_i32_e32 vcc, 5, v9
	v_cmp_eq_u32_e64 s[0:1], 3, v9
	v_lshrrev_b32_e32 v9, 16, v2
	v_lshrrev_b32_e32 v4, 2, v4
	s_or_b64 vcc, s[0:1], vcc
	v_mul_f16_sdwa v10, v30, v9 dst_sel:DWORD dst_unused:UNUSED_PAD src0_sel:WORD_1 src1_sel:DWORD
	v_addc_co_u32_e32 v4, vcc, 0, v4, vcc
	v_fma_f16 v10, v30, v2, v10
	v_cmp_gt_i32_e32 vcc, 31, v5
	v_cvt_f32_f16_e32 v10, v10
	v_cndmask_b32_e32 v4, v3, v4, vcc
	v_cmp_ne_u32_e32 vcc, 0, v0
	v_cndmask_b32_e64 v0, 0, 1, vcc
	v_lshl_or_b32 v0, v0, 9, v3
	v_cmp_eq_u32_e32 vcc, s10, v5
	v_cndmask_b32_e32 v0, v4, v0, vcc
	v_cvt_f64_f32_e32 v[4:5], v10
	v_lshrrev_b32_e32 v1, 16, v1
	v_and_or_b32 v10, v1, s11, v0
	v_and_b32_e32 v8, 0xffff, v8
	v_mul_f64 v[0:1], v[4:5], s[2:3]
	v_mov_b32_e32 v5, s9
	v_add_co_u32_e32 v4, vcc, s8, v6
	v_addc_co_u32_e32 v5, vcc, v7, v5, vcc
	v_lshl_or_b32 v8, v10, 16, v8
	global_store_dword v[4:5], v8, off
	v_and_or_b32 v0, v1, s6, v0
	v_cmp_ne_u32_e32 vcc, 0, v0
	v_cndmask_b32_e64 v0, 0, 1, vcc
	v_lshrrev_b32_e32 v6, 8, v1
	v_bfe_u32 v7, v1, 20, 11
	v_and_or_b32 v0, v6, s7, v0
	v_sub_u32_e32 v8, 0x3f1, v7
	v_or_b32_e32 v6, 0x1000, v0
	v_med3_i32 v8, v8, 0, 13
	v_lshrrev_b32_e32 v10, v8, v6
	v_lshlrev_b32_e32 v8, v8, v10
	v_mul_f16_sdwa v2, v30, v2 dst_sel:DWORD dst_unused:UNUSED_PAD src0_sel:WORD_1 src1_sel:DWORD
	v_cmp_ne_u32_e32 vcc, v8, v6
	v_fma_f16 v2, v30, v9, -v2
	v_cndmask_b32_e64 v6, 0, 1, vcc
	v_add_u32_e32 v8, 0xfffffc10, v7
	v_cvt_f32_f16_e32 v2, v2
	v_or_b32_e32 v6, v10, v6
	v_lshl_or_b32 v7, v8, 12, v0
	v_cmp_gt_i32_e32 vcc, 1, v8
	v_cndmask_b32_e32 v6, v7, v6, vcc
	v_and_b32_e32 v7, 7, v6
	v_cmp_lt_i32_e32 vcc, 5, v7
	v_cmp_eq_u32_e64 s[0:1], 3, v7
	v_lshrrev_b32_e32 v9, 2, v6
	v_cvt_f64_f32_e32 v[6:7], v2
	s_or_b64 vcc, s[0:1], vcc
	v_addc_co_u32_e32 v2, vcc, 0, v9, vcc
	v_mul_f64 v[6:7], v[6:7], s[2:3]
	v_cmp_gt_i32_e32 vcc, 31, v8
	v_cndmask_b32_e32 v2, v3, v2, vcc
	v_cmp_ne_u32_e32 vcc, 0, v0
	v_cndmask_b32_e64 v0, 0, 1, vcc
	v_lshl_or_b32 v0, v0, 9, v3
	v_cmp_eq_u32_e32 vcc, s10, v8
	v_cndmask_b32_e32 v0, v2, v0, vcc
	v_lshrrev_b32_e32 v1, 16, v1
	v_and_or_b32 v0, v1, s11, v0
	v_and_or_b32 v1, v7, s6, v6
	v_cmp_ne_u32_e32 vcc, 0, v1
	v_cndmask_b32_e64 v1, 0, 1, vcc
	v_lshrrev_b32_e32 v2, 8, v7
	v_bfe_u32 v6, v7, 20, 11
	v_and_or_b32 v1, v2, s7, v1
	v_sub_u32_e32 v8, 0x3f1, v6
	v_or_b32_e32 v2, 0x1000, v1
	v_med3_i32 v8, v8, 0, 13
	v_lshrrev_b32_e32 v9, v8, v2
	v_lshlrev_b32_e32 v8, v8, v9
	v_cmp_ne_u32_e32 vcc, v8, v2
	v_cndmask_b32_e64 v2, 0, 1, vcc
	v_add_u32_e32 v6, 0xfffffc10, v6
	v_or_b32_e32 v2, v9, v2
	v_lshl_or_b32 v8, v6, 12, v1
	v_cmp_gt_i32_e32 vcc, 1, v6
	v_cndmask_b32_e32 v2, v8, v2, vcc
	v_and_b32_e32 v8, 7, v2
	v_cmp_lt_i32_e32 vcc, 5, v8
	v_cmp_eq_u32_e64 s[0:1], 3, v8
	v_lshrrev_b32_e32 v2, 2, v2
	s_or_b64 vcc, s[0:1], vcc
	v_addc_co_u32_e32 v2, vcc, 0, v2, vcc
	v_cmp_gt_i32_e32 vcc, 31, v6
	v_cndmask_b32_e32 v2, v3, v2, vcc
	v_cmp_ne_u32_e32 vcc, 0, v1
	v_cndmask_b32_e64 v1, 0, 1, vcc
	v_lshl_or_b32 v1, v1, 9, v3
	v_cmp_eq_u32_e32 vcc, s10, v6
	v_cndmask_b32_e32 v1, v2, v1, vcc
	v_lshrrev_b32_e32 v2, 16, v7
	v_and_or_b32 v1, v2, s11, v1
	v_and_b32_e32 v0, 0xffff, v0
	v_lshl_or_b32 v2, v1, 16, v0
	v_mov_b32_e32 v1, s4
	v_add_co_u32_e32 v0, vcc, s5, v4
	v_addc_co_u32_e32 v1, vcc, v5, v1, vcc
	global_store_dword v[0:1], v2, off
.LBB0_18:
	s_endpgm
	.section	.rodata,"a",@progbits
	.p2align	6, 0x0
	.amdhsa_kernel bluestein_single_back_len780_dim1_half_op_CI_CI
		.amdhsa_group_segment_fixed_size 9360
		.amdhsa_private_segment_fixed_size 0
		.amdhsa_kernarg_size 104
		.amdhsa_user_sgpr_count 6
		.amdhsa_user_sgpr_private_segment_buffer 1
		.amdhsa_user_sgpr_dispatch_ptr 0
		.amdhsa_user_sgpr_queue_ptr 0
		.amdhsa_user_sgpr_kernarg_segment_ptr 1
		.amdhsa_user_sgpr_dispatch_id 0
		.amdhsa_user_sgpr_flat_scratch_init 0
		.amdhsa_user_sgpr_private_segment_size 0
		.amdhsa_uses_dynamic_stack 0
		.amdhsa_system_sgpr_private_segment_wavefront_offset 0
		.amdhsa_system_sgpr_workgroup_id_x 1
		.amdhsa_system_sgpr_workgroup_id_y 0
		.amdhsa_system_sgpr_workgroup_id_z 0
		.amdhsa_system_sgpr_workgroup_info 0
		.amdhsa_system_vgpr_workitem_id 0
		.amdhsa_next_free_vgpr 203
		.amdhsa_next_free_sgpr 32
		.amdhsa_reserve_vcc 1
		.amdhsa_reserve_flat_scratch 0
		.amdhsa_float_round_mode_32 0
		.amdhsa_float_round_mode_16_64 0
		.amdhsa_float_denorm_mode_32 3
		.amdhsa_float_denorm_mode_16_64 3
		.amdhsa_dx10_clamp 1
		.amdhsa_ieee_mode 1
		.amdhsa_fp16_overflow 0
		.amdhsa_exception_fp_ieee_invalid_op 0
		.amdhsa_exception_fp_denorm_src 0
		.amdhsa_exception_fp_ieee_div_zero 0
		.amdhsa_exception_fp_ieee_overflow 0
		.amdhsa_exception_fp_ieee_underflow 0
		.amdhsa_exception_fp_ieee_inexact 0
		.amdhsa_exception_int_div_zero 0
	.end_amdhsa_kernel
	.text
.Lfunc_end0:
	.size	bluestein_single_back_len780_dim1_half_op_CI_CI, .Lfunc_end0-bluestein_single_back_len780_dim1_half_op_CI_CI
                                        ; -- End function
	.section	.AMDGPU.csdata,"",@progbits
; Kernel info:
; codeLenInByte = 19916
; NumSgprs: 36
; NumVgprs: 203
; ScratchSize: 0
; MemoryBound: 0
; FloatMode: 240
; IeeeMode: 1
; LDSByteSize: 9360 bytes/workgroup (compile time only)
; SGPRBlocks: 4
; VGPRBlocks: 50
; NumSGPRsForWavesPerEU: 36
; NumVGPRsForWavesPerEU: 203
; Occupancy: 1
; WaveLimiterHint : 1
; COMPUTE_PGM_RSRC2:SCRATCH_EN: 0
; COMPUTE_PGM_RSRC2:USER_SGPR: 6
; COMPUTE_PGM_RSRC2:TRAP_HANDLER: 0
; COMPUTE_PGM_RSRC2:TGID_X_EN: 1
; COMPUTE_PGM_RSRC2:TGID_Y_EN: 0
; COMPUTE_PGM_RSRC2:TGID_Z_EN: 0
; COMPUTE_PGM_RSRC2:TIDIG_COMP_CNT: 0
	.type	__hip_cuid_24e587ba9ca80b34,@object ; @__hip_cuid_24e587ba9ca80b34
	.section	.bss,"aw",@nobits
	.globl	__hip_cuid_24e587ba9ca80b34
__hip_cuid_24e587ba9ca80b34:
	.byte	0                               ; 0x0
	.size	__hip_cuid_24e587ba9ca80b34, 1

	.ident	"AMD clang version 19.0.0git (https://github.com/RadeonOpenCompute/llvm-project roc-6.4.0 25133 c7fe45cf4b819c5991fe208aaa96edf142730f1d)"
	.section	".note.GNU-stack","",@progbits
	.addrsig
	.addrsig_sym __hip_cuid_24e587ba9ca80b34
	.amdgpu_metadata
---
amdhsa.kernels:
  - .args:
      - .actual_access:  read_only
        .address_space:  global
        .offset:         0
        .size:           8
        .value_kind:     global_buffer
      - .actual_access:  read_only
        .address_space:  global
        .offset:         8
        .size:           8
        .value_kind:     global_buffer
      - .actual_access:  read_only
        .address_space:  global
        .offset:         16
        .size:           8
        .value_kind:     global_buffer
      - .actual_access:  read_only
        .address_space:  global
        .offset:         24
        .size:           8
        .value_kind:     global_buffer
      - .actual_access:  read_only
        .address_space:  global
        .offset:         32
        .size:           8
        .value_kind:     global_buffer
      - .offset:         40
        .size:           8
        .value_kind:     by_value
      - .address_space:  global
        .offset:         48
        .size:           8
        .value_kind:     global_buffer
      - .address_space:  global
        .offset:         56
        .size:           8
        .value_kind:     global_buffer
      - .address_space:  global
        .offset:         64
        .size:           8
        .value_kind:     global_buffer
      - .address_space:  global
        .offset:         72
        .size:           8
        .value_kind:     global_buffer
      - .offset:         80
        .size:           4
        .value_kind:     by_value
      - .address_space:  global
        .offset:         88
        .size:           8
        .value_kind:     global_buffer
      - .address_space:  global
        .offset:         96
        .size:           8
        .value_kind:     global_buffer
    .group_segment_fixed_size: 9360
    .kernarg_segment_align: 8
    .kernarg_segment_size: 104
    .language:       OpenCL C
    .language_version:
      - 2
      - 0
    .max_flat_workgroup_size: 234
    .name:           bluestein_single_back_len780_dim1_half_op_CI_CI
    .private_segment_fixed_size: 0
    .sgpr_count:     36
    .sgpr_spill_count: 0
    .symbol:         bluestein_single_back_len780_dim1_half_op_CI_CI.kd
    .uniform_work_group_size: 1
    .uses_dynamic_stack: false
    .vgpr_count:     203
    .vgpr_spill_count: 0
    .wavefront_size: 64
amdhsa.target:   amdgcn-amd-amdhsa--gfx906
amdhsa.version:
  - 1
  - 2
...

	.end_amdgpu_metadata
